;; amdgpu-corpus repo=ROCm/rocFFT kind=compiled arch=gfx906 opt=O3
	.text
	.amdgcn_target "amdgcn-amd-amdhsa--gfx906"
	.amdhsa_code_object_version 6
	.protected	bluestein_single_back_len2592_dim1_half_op_CI_CI ; -- Begin function bluestein_single_back_len2592_dim1_half_op_CI_CI
	.globl	bluestein_single_back_len2592_dim1_half_op_CI_CI
	.p2align	8
	.type	bluestein_single_back_len2592_dim1_half_op_CI_CI,@function
bluestein_single_back_len2592_dim1_half_op_CI_CI: ; @bluestein_single_back_len2592_dim1_half_op_CI_CI
; %bb.0:
	s_load_dwordx4 s[16:19], s[4:5], 0x28
	v_mul_u32_u24_e32 v1, 0x130, v0
	v_add_u32_sdwa v20, s6, v1 dst_sel:DWORD dst_unused:UNUSED_PAD src0_sel:DWORD src1_sel:WORD_1
	v_mov_b32_e32 v21, 0
	s_waitcnt lgkmcnt(0)
	v_cmp_gt_u64_e32 vcc, s[16:17], v[20:21]
	s_and_saveexec_b64 s[0:1], vcc
	s_cbranch_execz .LBB0_2
; %bb.1:
	s_load_dwordx4 s[8:11], s[4:5], 0x18
	s_load_dwordx4 s[0:3], s[4:5], 0x0
	s_movk_i32 s16, 0xd8
	v_mul_lo_u16_sdwa v1, v1, s16 dst_sel:DWORD dst_unused:UNUSED_PAD src0_sel:WORD_1 src1_sel:DWORD
	v_sub_u16_e32 v37, v0, v1
	s_waitcnt lgkmcnt(0)
	s_load_dwordx4 s[12:15], s[8:9], 0x0
	v_lshlrev_b32_e32 v40, 2, v37
	global_load_dword v38, v40, s[0:1]
	global_load_dword v36, v40, s[0:1] offset:1728
	global_load_dword v33, v40, s[0:1] offset:3456
	s_waitcnt lgkmcnt(0)
	v_mad_u64_u32 v[0:1], s[6:7], s14, v20, 0
	v_mad_u64_u32 v[2:3], s[6:7], s12, v37, 0
	s_movk_i32 s14, 0x2000
	v_mov_b32_e32 v28, 0xffffe1a0
	v_mad_u64_u32 v[4:5], s[6:7], s15, v20, v[1:2]
	s_mul_i32 s15, s12, 0x6c0
	v_add_u32_e32 v41, 0xd00, v40
	v_mad_u64_u32 v[5:6], s[6:7], s13, v37, v[3:4]
	v_mov_b32_e32 v1, v4
	v_lshlrev_b64 v[0:1], 2, v[0:1]
	v_mov_b32_e32 v6, s19
	v_mov_b32_e32 v3, v5
	v_add_co_u32_e32 v4, vcc, s18, v0
	v_addc_co_u32_e32 v5, vcc, v6, v1, vcc
	v_lshlrev_b64 v[0:1], 2, v[2:3]
	v_mov_b32_e32 v2, s1
	v_add_co_u32_e32 v0, vcc, v4, v0
	v_addc_co_u32_e32 v1, vcc, v5, v1, vcc
	v_add_co_u32_e32 v43, vcc, s0, v40
	s_mul_i32 s6, s13, 0x6c0
	s_mul_hi_u32 s7, s12, 0x6c0
	global_load_dword v6, v[0:1], off
	v_addc_co_u32_e32 v44, vcc, 0, v2, vcc
	s_add_i32 s6, s7, s6
	v_mov_b32_e32 v2, s6
	v_add_co_u32_e32 v0, vcc, s15, v0
	v_addc_co_u32_e32 v1, vcc, v1, v2, vcc
	v_mov_b32_e32 v3, s6
	v_add_co_u32_e32 v2, vcc, s15, v0
	v_addc_co_u32_e32 v3, vcc, v1, v3, vcc
	;; [unrolled: 3-line block ×3, first 2 shown]
	global_load_dword v7, v[0:1], off
	global_load_dword v8, v[2:3], off
	;; [unrolled: 1-line block ×3, first 2 shown]
	s_movk_i32 s7, 0x1000
	v_add_co_u32_e32 v0, vcc, s7, v43
	v_addc_co_u32_e32 v1, vcc, 0, v44, vcc
	global_load_dword v32, v[0:1], off offset:1088
	v_mov_b32_e32 v3, s6
	v_add_co_u32_e32 v2, vcc, s15, v4
	v_addc_co_u32_e32 v3, vcc, v5, v3, vcc
	global_load_dword v4, v[2:3], off
	global_load_dword v31, v[0:1], off offset:2816
	v_mov_b32_e32 v5, s6
	v_add_co_u32_e32 v2, vcc, s15, v2
	v_addc_co_u32_e32 v3, vcc, v3, v5, vcc
	v_add_co_u32_e32 v21, vcc, s14, v43
	global_load_dword v5, v[2:3], off
	v_addc_co_u32_e32 v22, vcc, 0, v44, vcc
	v_mad_u64_u32 v[2:3], s[8:9], s12, v28, v[2:3]
	global_load_dword v30, v[21:22], off offset:448
	s_mul_i32 s8, s13, 0xffffe1a0
	s_sub_i32 s8, s8, s12
	v_add_u32_e32 v3, s8, v3
	global_load_dword v10, v[2:3], off
	global_load_dword v27, v40, s[0:1] offset:2592
	global_load_dword v29, v40, s[0:1] offset:864
	v_mov_b32_e32 v11, s6
	v_add_co_u32_e32 v2, vcc, s15, v2
	v_addc_co_u32_e32 v3, vcc, v3, v11, vcc
	global_load_dword v11, v[2:3], off
	v_mov_b32_e32 v12, s6
	v_add_co_u32_e32 v2, vcc, s15, v2
	v_addc_co_u32_e32 v3, vcc, v3, v12, vcc
	global_load_dword v12, v[2:3], off
	global_load_dword v24, v[0:1], off offset:3680
	global_load_dword v25, v[0:1], off offset:1952
	;; [unrolled: 1-line block ×3, first 2 shown]
	v_mov_b32_e32 v1, s6
	v_add_co_u32_e32 v0, vcc, s15, v2
	v_addc_co_u32_e32 v1, vcc, v3, v1, vcc
	global_load_dword v2, v[0:1], off
	v_mov_b32_e32 v3, s6
	v_add_co_u32_e32 v0, vcc, s15, v0
	v_addc_co_u32_e32 v1, vcc, v1, v3, vcc
	global_load_dword v3, v[0:1], off
	;; [unrolled: 4-line block ×3, first 2 shown]
	global_load_dword v23, v[21:22], off offset:1312
	s_load_dwordx4 s[8:11], s[10:11], 0x0
	s_waitcnt vmcnt(20)
	v_lshrrev_b32_e32 v0, 16, v6
	v_mul_f16_sdwa v1, v38, v0 dst_sel:DWORD dst_unused:UNUSED_PAD src0_sel:WORD_1 src1_sel:DWORD
	v_fma_f16 v1, v38, v6, v1
	v_mul_f16_sdwa v6, v38, v6 dst_sel:DWORD dst_unused:UNUSED_PAD src0_sel:WORD_1 src1_sel:DWORD
	v_fma_f16 v0, v38, v0, -v6
	v_pack_b32_f16 v0, v1, v0
	v_add_u32_e32 v35, 0x1b00, v40
	v_add_u32_e32 v39, 0x1400, v40
	;; [unrolled: 1-line block ×4, first 2 shown]
	s_movk_i32 s0, 0x3aee
	s_mov_b32 s6, 0xffff
	s_mov_b32 s1, 0xbaee3aee
	v_mov_b32_e32 v57, s3
	s_load_dwordx2 s[4:5], s[4:5], 0x38
	s_waitcnt vmcnt(19)
	v_lshrrev_b32_e32 v1, 16, v7
	v_mul_f16_sdwa v6, v36, v1 dst_sel:DWORD dst_unused:UNUSED_PAD src0_sel:WORD_1 src1_sel:DWORD
	v_fma_f16 v6, v36, v7, v6
	v_mul_f16_sdwa v7, v36, v7 dst_sel:DWORD dst_unused:UNUSED_PAD src0_sel:WORD_1 src1_sel:DWORD
	v_fma_f16 v1, v36, v1, -v7
	v_pack_b32_f16 v1, v6, v1
	ds_write_b32 v40, v1 offset:1728
	s_waitcnt vmcnt(18)
	v_lshrrev_b32_e32 v1, 16, v8
	v_mul_f16_sdwa v6, v33, v1 dst_sel:DWORD dst_unused:UNUSED_PAD src0_sel:WORD_1 src1_sel:DWORD
	v_mul_f16_sdwa v7, v33, v8 dst_sel:DWORD dst_unused:UNUSED_PAD src0_sel:WORD_1 src1_sel:DWORD
	v_fma_f16 v6, v33, v8, v6
	v_fma_f16 v1, v33, v1, -v7
	v_pack_b32_f16 v1, v6, v1
	ds_write_b32 v40, v1 offset:3456
	s_waitcnt vmcnt(17)
	v_lshrrev_b32_e32 v1, 16, v9
	s_waitcnt vmcnt(16)
	v_mul_f16_sdwa v6, v32, v1 dst_sel:DWORD dst_unused:UNUSED_PAD src0_sel:WORD_1 src1_sel:DWORD
	v_mul_f16_sdwa v7, v32, v9 dst_sel:DWORD dst_unused:UNUSED_PAD src0_sel:WORD_1 src1_sel:DWORD
	v_fma_f16 v6, v32, v9, v6
	v_fma_f16 v1, v32, v1, -v7
	v_pack_b32_f16 v1, v6, v1
	ds_write_b32 v40, v1 offset:5184
	s_waitcnt vmcnt(15)
	v_lshrrev_b32_e32 v1, 16, v4
	s_waitcnt vmcnt(14)
	v_mul_f16_sdwa v6, v31, v1 dst_sel:DWORD dst_unused:UNUSED_PAD src0_sel:WORD_1 src1_sel:DWORD
	v_fma_f16 v6, v31, v4, v6
	v_mul_f16_sdwa v4, v31, v4 dst_sel:DWORD dst_unused:UNUSED_PAD src0_sel:WORD_1 src1_sel:DWORD
	v_fma_f16 v1, v31, v1, -v4
	v_pack_b32_f16 v1, v6, v1
	ds_write_b32 v40, v1 offset:6912
	s_waitcnt vmcnt(13)
	v_lshrrev_b32_e32 v1, 16, v5
	s_waitcnt vmcnt(12)
	v_mul_f16_sdwa v4, v30, v1 dst_sel:DWORD dst_unused:UNUSED_PAD src0_sel:WORD_1 src1_sel:DWORD
	v_fma_f16 v4, v30, v5, v4
	v_mul_f16_sdwa v5, v30, v5 dst_sel:DWORD dst_unused:UNUSED_PAD src0_sel:WORD_1 src1_sel:DWORD
	v_fma_f16 v1, v30, v1, -v5
	v_pack_b32_f16 v1, v4, v1
	ds_write_b32 v40, v1 offset:8640
	s_waitcnt vmcnt(11)
	v_lshrrev_b32_e32 v1, 16, v10
	s_waitcnt vmcnt(9)
	v_mul_f16_sdwa v4, v29, v1 dst_sel:DWORD dst_unused:UNUSED_PAD src0_sel:WORD_1 src1_sel:DWORD
	v_mul_f16_sdwa v5, v29, v10 dst_sel:DWORD dst_unused:UNUSED_PAD src0_sel:WORD_1 src1_sel:DWORD
	v_fma_f16 v4, v29, v10, v4
	v_fma_f16 v1, v29, v1, -v5
	v_pack_b32_f16 v1, v4, v1
	ds_write2_b32 v40, v0, v1 offset1:216
	s_waitcnt vmcnt(8)
	v_lshrrev_b32_e32 v0, 16, v11
	v_mul_f16_sdwa v1, v27, v0 dst_sel:DWORD dst_unused:UNUSED_PAD src0_sel:WORD_1 src1_sel:DWORD
	v_mul_f16_sdwa v4, v27, v11 dst_sel:DWORD dst_unused:UNUSED_PAD src0_sel:WORD_1 src1_sel:DWORD
	v_fma_f16 v1, v27, v11, v1
	v_fma_f16 v0, v27, v0, -v4
	v_pack_b32_f16 v0, v1, v0
	ds_write_b32 v40, v0 offset:2592
	s_waitcnt vmcnt(7)
	v_lshrrev_b32_e32 v0, 16, v12
	s_waitcnt vmcnt(4)
	v_mul_f16_sdwa v1, v26, v0 dst_sel:DWORD dst_unused:UNUSED_PAD src0_sel:WORD_1 src1_sel:DWORD
	v_mul_f16_sdwa v4, v26, v12 dst_sel:DWORD dst_unused:UNUSED_PAD src0_sel:WORD_1 src1_sel:DWORD
	v_fma_f16 v1, v26, v12, v1
	v_fma_f16 v0, v26, v0, -v4
	v_pack_b32_f16 v0, v1, v0
	ds_write_b32 v40, v0 offset:4320
	s_waitcnt vmcnt(3)
	v_lshrrev_b32_e32 v0, 16, v2
	v_mul_f16_sdwa v1, v25, v0 dst_sel:DWORD dst_unused:UNUSED_PAD src0_sel:WORD_1 src1_sel:DWORD
	v_fma_f16 v1, v25, v2, v1
	v_mul_f16_sdwa v2, v25, v2 dst_sel:DWORD dst_unused:UNUSED_PAD src0_sel:WORD_1 src1_sel:DWORD
	v_fma_f16 v0, v25, v0, -v2
	v_pack_b32_f16 v0, v1, v0
	ds_write_b32 v40, v0 offset:6048
	s_waitcnt vmcnt(2)
	v_lshrrev_b32_e32 v0, 16, v3
	v_mul_f16_sdwa v1, v24, v0 dst_sel:DWORD dst_unused:UNUSED_PAD src0_sel:WORD_1 src1_sel:DWORD
	v_mul_f16_sdwa v2, v24, v3 dst_sel:DWORD dst_unused:UNUSED_PAD src0_sel:WORD_1 src1_sel:DWORD
	v_fma_f16 v1, v24, v3, v1
	v_fma_f16 v0, v24, v0, -v2
	v_pack_b32_f16 v0, v1, v0
	ds_write_b32 v40, v0 offset:7776
	s_waitcnt vmcnt(1)
	v_lshrrev_b32_e32 v0, 16, v13
	s_waitcnt vmcnt(0)
	v_mul_f16_sdwa v1, v23, v0 dst_sel:DWORD dst_unused:UNUSED_PAD src0_sel:WORD_1 src1_sel:DWORD
	v_mul_f16_sdwa v2, v23, v13 dst_sel:DWORD dst_unused:UNUSED_PAD src0_sel:WORD_1 src1_sel:DWORD
	v_fma_f16 v1, v23, v13, v1
	v_fma_f16 v0, v23, v0, -v2
	v_pack_b32_f16 v0, v1, v0
	ds_write_b32 v40, v0 offset:9504
	s_waitcnt lgkmcnt(0)
	s_barrier
	ds_read2_b32 v[0:1], v41 offset0:32 offset1:248
	ds_read2_b32 v[2:3], v35 offset1:216
	ds_read2_b32 v[4:5], v40 offset1:216
	ds_read2_b32 v[6:7], v39 offset0:16 offset1:232
	s_waitcnt lgkmcnt(2)
	v_pk_add_f16 v8, v0, v2
	s_waitcnt lgkmcnt(1)
	v_pk_fma_f16 v12, v8, 0.5, v4 op_sel_hi:[1,0,1] neg_lo:[1,0,0] neg_hi:[1,0,0]
	ds_read2_b32 v[8:9], v34 offset0:16 offset1:232
	ds_read2_b32 v[10:11], v42 offset0:16 offset1:232
	v_pk_add_f16 v13, v0, v2 neg_lo:[0,1] neg_hi:[0,1]
	v_pk_mul_f16 v13, v13, s0 op_sel_hi:[1,0]
	v_pk_add_f16 v16, v12, v13 op_sel:[0,1] op_sel_hi:[1,0]
	v_pk_add_f16 v17, v12, v13 op_sel:[0,1] op_sel_hi:[1,0] neg_lo:[0,1] neg_hi:[0,1]
	s_waitcnt lgkmcnt(1)
	v_pk_add_f16 v12, v6, v8
	s_waitcnt lgkmcnt(0)
	v_pk_fma_f16 v12, v12, 0.5, v10 op_sel_hi:[1,0,1] neg_lo:[1,0,0] neg_hi:[1,0,0]
	v_pk_add_f16 v13, v6, v8 neg_lo:[0,1] neg_hi:[0,1]
	v_pk_fma_f16 v14, v13, s0, v12 op_sel:[0,0,1] op_sel_hi:[1,0,0]
	v_pk_fma_f16 v12, v13, s0, v12 op_sel:[0,0,1] op_sel_hi:[1,0,0] neg_lo:[1,0,0] neg_hi:[1,0,0]
	v_lshrrev_b32_e32 v13, 16, v14
	v_mul_f16_e32 v15, 0x3aee, v12
	v_pk_add_f16 v0, v4, v0
	v_bfi_b32 v14, s6, v14, v12
	v_fma_f16 v18, v13, 0.5, v15
	v_mul_f16_e32 v13, 0xbaee, v13
	v_pk_add_f16 v0, v0, v2
	v_pk_add_f16 v2, v10, v6
	v_fma_f16 v19, v12, 0.5, v13
	v_pk_mul_f16 v12, v14, 0.5 op_sel_hi:[1,0]
	v_pk_add_f16 v2, v2, v8
	v_pk_fma_f16 v45, v14, s1, v12 op_sel:[0,0,1] op_sel_hi:[1,1,0] neg_lo:[0,0,1] neg_hi:[0,0,1]
	v_pk_add_f16 v12, v0, v2
	v_pk_add_f16 v15, v0, v2 neg_lo:[0,1] neg_hi:[0,1]
	v_bfi_b32 v0, s6, v17, v16
	v_add_f16_e32 v4, v16, v18
	v_add_f16_sdwa v6, v17, v19 dst_sel:DWORD dst_unused:UNUSED_PAD src0_sel:WORD_1 src1_sel:DWORD
	v_pk_add_f16 v14, v0, v45
	v_mul_lo_u16_e32 v0, 6, v37
	v_pack_b32_f16 v13, v4, v6
	v_lshlrev_b32_e32 v46, 2, v0
	v_pk_add_f16 v0, v5, v1
	v_pack_b32_f16 v6, v19, v45
	v_pk_add_f16 v2, v1, v3
	v_pk_add_f16 v4, v1, v3 neg_lo:[0,1] neg_hi:[0,1]
	v_pk_add_f16 v3, v0, v3
	v_sub_f16_e32 v0, v16, v18
	v_sub_f16_sdwa v1, v16, v45 dst_sel:DWORD dst_unused:UNUSED_PAD src0_sel:WORD_1 src1_sel:WORD_1
	v_pk_add_f16 v6, v17, v6 op_sel:[1,0] op_sel_hi:[0,1] neg_lo:[0,1] neg_hi:[0,1]
	v_alignbit_b32 v1, v1, v6, 16
	v_pack_b32_f16 v0, v0, v6
	s_barrier
	ds_write_b64 v46, v[0:1] offset:16
	v_pk_fma_f16 v0, v2, 0.5, v5 op_sel_hi:[1,0,1] neg_lo:[1,0,0] neg_hi:[1,0,0]
	v_pk_add_f16 v1, v7, v9
	v_pk_mul_f16 v4, v4, s0 op_sel_hi:[1,0]
	v_pk_fma_f16 v1, v1, 0.5, v11 op_sel_hi:[1,0,1] neg_lo:[1,0,0] neg_hi:[1,0,0]
	v_pk_add_f16 v5, v0, v4 op_sel:[0,1] op_sel_hi:[1,0]
	v_pk_add_f16 v6, v0, v4 op_sel:[0,1] op_sel_hi:[1,0] neg_lo:[0,1] neg_hi:[0,1]
	v_pk_add_f16 v0, v7, v9 neg_lo:[0,1] neg_hi:[0,1]
	v_pk_fma_f16 v4, v0, s0, v1 op_sel:[0,0,1] op_sel_hi:[1,0,0]
	v_pk_fma_f16 v0, v0, s0, v1 op_sel:[0,0,1] op_sel_hi:[1,0,0] neg_lo:[1,0,0] neg_hi:[1,0,0]
	v_pk_add_f16 v2, v11, v7
	v_lshrrev_b32_e32 v7, 16, v4
	v_bfi_b32 v1, s6, v4, v0
	v_mul_f16_e32 v4, 0x3aee, v0
	v_fma_f16 v8, v7, 0.5, v4
	v_mul_f16_e32 v7, 0xbaee, v7
	v_fma_f16 v7, v0, 0.5, v7
	v_pk_mul_f16 v0, v1, 0.5 op_sel_hi:[1,0]
	v_pk_add_f16 v2, v2, v9
	v_add_f16_e32 v4, v5, v8
	v_pk_fma_f16 v9, v1, s1, v0 op_sel:[0,0,1] op_sel_hi:[1,1,0] neg_lo:[0,0,1] neg_hi:[0,0,1]
	v_add_f16_sdwa v0, v6, v7 dst_sel:DWORD dst_unused:UNUSED_PAD src0_sel:WORD_1 src1_sel:DWORD
	v_pack_b32_f16 v1, v4, v0
	v_add_co_u32_e32 v4, vcc, s16, v37
	v_pk_add_f16 v0, v3, v2
	v_pk_add_f16 v3, v3, v2 neg_lo:[0,1] neg_hi:[0,1]
	v_bfi_b32 v2, s6, v6, v5
	v_mul_u32_u24_e32 v10, 6, v4
	v_pk_add_f16 v2, v2, v9
	v_lshlrev_b32_e32 v47, 2, v10
	ds_write2_b64 v46, v[12:13], v[14:15] offset1:1
	ds_write2_b64 v47, v[0:1], v[2:3] offset1:1
	v_pack_b32_f16 v2, v7, v9
	v_sub_f16_e32 v0, v5, v8
	v_sub_f16_sdwa v1, v5, v9 dst_sel:DWORD dst_unused:UNUSED_PAD src0_sel:WORD_1 src1_sel:WORD_1
	v_pk_add_f16 v2, v6, v2 op_sel:[1,0] op_sel_hi:[0,1] neg_lo:[0,1] neg_hi:[0,1]
	v_alignbit_b32 v1, v1, v2, 16
	v_pack_b32_f16 v0, v0, v2
	s_movk_i32 s1, 0xab
	ds_write_b64 v47, v[0:1] offset:16
	v_mul_lo_u16_sdwa v0, v37, s1 dst_sel:DWORD dst_unused:UNUSED_PAD src0_sel:BYTE_0 src1_sel:DWORD
	v_lshrrev_b16_e32 v11, 10, v0
	v_mul_lo_u16_e32 v0, 6, v11
	v_sub_u16_e32 v0, v37, v0
	v_and_b32_e32 v51, 0xff, v0
	v_mad_u64_u32 v[5:6], s[12:13], v51, 20, s[2:3]
	s_waitcnt lgkmcnt(0)
	s_barrier
	global_load_dwordx4 v[0:3], v[5:6], off
	global_load_dword v45, v[5:6], off offset:16
	ds_read2_b32 v[5:6], v41 offset0:32 offset1:248
	ds_read2_b32 v[7:8], v35 offset1:216
	ds_read2_b32 v[9:10], v40 offset1:216
	s_mov_b32 s1, 0xaaab
	v_mul_u32_u24_e32 v11, 36, v11
	s_waitcnt lgkmcnt(2)
	v_lshrrev_b32_e32 v12, 16, v5
	s_waitcnt lgkmcnt(1)
	v_lshrrev_b32_e32 v18, 16, v7
	;; [unrolled: 2-line block ×3, first 2 shown]
	s_waitcnt vmcnt(1)
	v_mul_f16_sdwa v13, v5, v1 dst_sel:DWORD dst_unused:UNUSED_PAD src0_sel:DWORD src1_sel:WORD_1
	v_fma_f16 v13, v12, v1, v13
	v_mul_f16_sdwa v12, v12, v1 dst_sel:DWORD dst_unused:UNUSED_PAD src0_sel:DWORD src1_sel:WORD_1
	v_fma_f16 v5, v5, v1, -v12
	v_mul_u32_u24_sdwa v12, v4, s1 dst_sel:DWORD dst_unused:UNUSED_PAD src0_sel:WORD_0 src1_sel:DWORD
	v_lshrrev_b32_e32 v55, 18, v12
	v_mul_lo_u16_e32 v12, 6, v55
	v_mul_f16_sdwa v14, v7, v3 dst_sel:DWORD dst_unused:UNUSED_PAD src0_sel:DWORD src1_sel:WORD_1
	v_sub_u16_e32 v56, v4, v12
	v_fma_f16 v14, v18, v3, v14
	v_add_f16_e32 v16, v15, v13
	v_mul_lo_u16_e32 v12, 20, v56
	v_add_f16_e32 v52, v16, v14
	v_add_co_u32_e32 v16, vcc, s2, v12
	v_sub_f16_e32 v53, v13, v14
	v_add_f16_e32 v13, v13, v14
	v_addc_co_u32_e32 v17, vcc, 0, v57, vcc
	v_fma_f16 v54, v13, -0.5, v15
	global_load_dword v48, v[16:17], off offset:16
	global_load_dwordx4 v[12:15], v[16:17], off
	v_mul_f16_sdwa v16, v18, v3 dst_sel:DWORD dst_unused:UNUSED_PAD src0_sel:DWORD src1_sel:WORD_1
	v_fma_f16 v7, v7, v3, -v16
	v_add_f16_e32 v18, v9, v5
	ds_read2_b32 v[16:17], v42 offset0:16 offset1:232
	v_add_f16_e32 v58, v18, v7
	ds_read2_b32 v[18:19], v39 offset0:16 offset1:232
	ds_read2_b32 v[49:50], v34 offset0:16 offset1:232
	v_add_f16_e32 v59, v5, v7
	v_sub_f16_e32 v5, v5, v7
	s_waitcnt lgkmcnt(2)
	v_lshrrev_b32_e32 v7, 16, v16
	v_mul_f16_sdwa v60, v16, v0 dst_sel:DWORD dst_unused:UNUSED_PAD src0_sel:DWORD src1_sel:WORD_1
	v_fma_f16 v60, v7, v0, v60
	s_waitcnt lgkmcnt(1)
	v_lshrrev_b32_e32 v61, 16, v18
	v_mul_f16_sdwa v7, v7, v0 dst_sel:DWORD dst_unused:UNUSED_PAD src0_sel:DWORD src1_sel:WORD_1
	s_waitcnt lgkmcnt(0)
	v_lshrrev_b32_e32 v63, 16, v49
	v_fma_f16 v7, v16, v0, -v7
	v_mul_f16_sdwa v16, v61, v2 dst_sel:DWORD dst_unused:UNUSED_PAD src0_sel:DWORD src1_sel:WORD_1
	v_mul_f16_sdwa v62, v18, v2 dst_sel:DWORD dst_unused:UNUSED_PAD src0_sel:DWORD src1_sel:WORD_1
	s_waitcnt vmcnt(2)
	v_mul_f16_sdwa v64, v49, v45 dst_sel:DWORD dst_unused:UNUSED_PAD src0_sel:DWORD src1_sel:WORD_1
	v_fma_f16 v16, v18, v2, -v16
	v_mul_f16_sdwa v18, v63, v45 dst_sel:DWORD dst_unused:UNUSED_PAD src0_sel:DWORD src1_sel:WORD_1
	v_fma_f16 v62, v61, v2, v62
	v_fma_f16 v64, v63, v45, v64
	v_fma_f16 v18, v49, v45, -v18
	v_add_f16_e32 v65, v60, v62
	v_sub_f16_e32 v66, v62, v64
	v_add_f16_e32 v62, v62, v64
	v_add_f16_e32 v49, v16, v18
	v_fma_f16 v60, v62, -0.5, v60
	v_fma_f16 v61, v49, -0.5, v7
	v_add_f16_e32 v7, v7, v16
	v_sub_f16_e32 v16, v16, v18
	s_mov_b32 s1, 0xbaee
	v_fma_f16 v49, v16, s1, v60
	v_add_f16_e32 v7, v7, v18
	v_fma_f16 v18, v66, s0, v61
	v_mul_f16_e32 v62, 0x3aee, v49
	v_add_f16_e32 v65, v65, v64
	v_fma_f16 v62, v18, 0.5, v62
	v_mul_f16_e32 v18, 0xbaee, v18
	v_fma_f16 v18, v49, 0.5, v18
	v_add_lshl_u32 v49, v11, v51, 2
	v_add_f16_e32 v11, v58, v7
	v_add_f16_e32 v51, v52, v65
	v_fma_f16 v9, v59, -0.5, v9
	v_pack_b32_f16 v11, v11, v51
	v_fma_f16 v51, v53, s0, v9
	v_fma_f16 v59, v5, s1, v54
	v_add_f16_e32 v63, v51, v62
	v_add_f16_e32 v64, v59, v18
	v_pack_b32_f16 v63, v63, v64
	s_waitcnt vmcnt(0)
	s_barrier
	ds_write2_b32 v49, v11, v63 offset1:6
	v_fma_f16 v11, v66, s1, v61
	v_fma_f16 v9, v53, s1, v9
	;; [unrolled: 1-line block ×3, first 2 shown]
	v_mul_f16_e32 v53, -0.5, v11
	v_fma_f16 v53, v16, s0, v53
	v_mul_f16_e32 v16, -0.5, v16
	v_fma_f16 v5, v5, s0, v54
	v_fma_f16 v11, v11, s1, v16
	v_sub_f16_e32 v7, v58, v7
	v_sub_f16_e32 v16, v52, v65
	v_add_f16_e32 v52, v9, v53
	v_add_f16_e32 v54, v5, v11
	v_pack_b32_f16 v52, v52, v54
	v_pack_b32_f16 v7, v7, v16
	ds_write2_b32 v49, v52, v7 offset0:12 offset1:18
	v_sub_f16_e32 v7, v51, v62
	v_sub_f16_e32 v9, v9, v53
	;; [unrolled: 1-line block ×4, first 2 shown]
	v_pack_b32_f16 v7, v7, v16
	v_pack_b32_f16 v5, v9, v5
	ds_write2_b32 v49, v7, v5 offset0:24 offset1:30
	v_lshrrev_b32_e32 v5, 16, v17
	v_mul_f16_sdwa v9, v17, v12 dst_sel:DWORD dst_unused:UNUSED_PAD src0_sel:DWORD src1_sel:WORD_1
	v_mul_f16_sdwa v7, v5, v12 dst_sel:DWORD dst_unused:UNUSED_PAD src0_sel:DWORD src1_sel:WORD_1
	v_fma_f16 v5, v5, v12, v9
	v_lshrrev_b32_e32 v9, 16, v6
	v_mul_f16_sdwa v11, v9, v13 dst_sel:DWORD dst_unused:UNUSED_PAD src0_sel:DWORD src1_sel:WORD_1
	v_fma_f16 v11, v6, v13, -v11
	v_mul_f16_sdwa v6, v6, v13 dst_sel:DWORD dst_unused:UNUSED_PAD src0_sel:DWORD src1_sel:WORD_1
	v_fma_f16 v7, v17, v12, -v7
	v_fma_f16 v6, v9, v13, v6
	v_lshrrev_b32_e32 v9, 16, v19
	v_mul_f16_sdwa v17, v19, v14 dst_sel:DWORD dst_unused:UNUSED_PAD src0_sel:DWORD src1_sel:WORD_1
	v_mul_f16_sdwa v16, v9, v14 dst_sel:DWORD dst_unused:UNUSED_PAD src0_sel:DWORD src1_sel:WORD_1
	v_fma_f16 v9, v9, v14, v17
	v_lshrrev_b32_e32 v17, 16, v8
	v_mul_f16_sdwa v18, v17, v15 dst_sel:DWORD dst_unused:UNUSED_PAD src0_sel:DWORD src1_sel:WORD_1
	v_fma_f16 v18, v8, v15, -v18
	v_mul_f16_sdwa v8, v8, v15 dst_sel:DWORD dst_unused:UNUSED_PAD src0_sel:DWORD src1_sel:WORD_1
	v_fma_f16 v8, v17, v15, v8
	v_lshrrev_b32_e32 v17, 16, v50
	v_fma_f16 v16, v19, v14, -v16
	v_mul_f16_sdwa v19, v17, v48 dst_sel:DWORD dst_unused:UNUSED_PAD src0_sel:DWORD src1_sel:WORD_1
	v_fma_f16 v19, v50, v48, -v19
	v_mul_f16_sdwa v50, v50, v48 dst_sel:DWORD dst_unused:UNUSED_PAD src0_sel:DWORD src1_sel:WORD_1
	v_fma_f16 v17, v17, v48, v50
	v_add_f16_e32 v50, v11, v18
	v_fma_f16 v51, v50, -0.5, v10
	v_lshrrev_b32_e32 v50, 16, v10
	v_add_f16_e32 v10, v10, v11
	v_add_f16_e32 v52, v50, v6
	;; [unrolled: 1-line block ×3, first 2 shown]
	v_sub_f16_e32 v53, v6, v8
	v_add_f16_e32 v6, v6, v8
	v_add_f16_e32 v8, v10, v18
	v_sub_f16_e32 v10, v11, v18
	v_add_f16_e32 v11, v5, v9
	v_sub_f16_e32 v18, v9, v17
	v_add_f16_e32 v9, v9, v17
	v_fma_f16 v5, v9, -0.5, v5
	v_add_f16_e32 v9, v16, v19
	v_fma_f16 v9, v9, -0.5, v7
	v_add_f16_e32 v7, v7, v16
	v_sub_f16_e32 v16, v16, v19
	v_add_f16_e32 v7, v7, v19
	v_fma_f16 v19, v16, s1, v5
	v_fma_f16 v6, v6, -0.5, v50
	v_add_f16_e32 v11, v11, v17
	v_fma_f16 v17, v18, s0, v9
	v_mul_f16_e32 v50, 0x3aee, v19
	v_fma_f16 v54, v17, 0.5, v50
	v_mul_f16_e32 v17, 0xbaee, v17
	v_fma_f16 v9, v18, s1, v9
	v_fma_f16 v17, v19, 0.5, v17
	v_mad_legacy_u16 v19, v55, 36, v56
	v_add_f16_e32 v50, v8, v7
	v_add_f16_e32 v55, v52, v11
	v_fma_f16 v56, v53, s0, v51
	v_fma_f16 v58, v10, s1, v6
	;; [unrolled: 1-line block ×4, first 2 shown]
	v_mul_f16_e32 v10, -0.5, v9
	v_pack_b32_f16 v55, v50, v55
	v_add_f16_e32 v50, v56, v54
	v_add_f16_e32 v59, v58, v17
	v_fma_f16 v10, v5, s0, v10
	v_mul_f16_e32 v5, -0.5, v5
	v_pack_b32_f16 v59, v50, v59
	v_lshlrev_b32_e32 v50, 2, v19
	v_fma_f16 v19, v53, s1, v51
	v_fma_f16 v5, v9, s1, v5
	v_sub_f16_e32 v7, v8, v7
	v_sub_f16_e32 v8, v52, v11
	v_add_f16_e32 v9, v19, v10
	v_add_f16_e32 v11, v6, v5
	v_pack_b32_f16 v9, v9, v11
	v_pack_b32_f16 v7, v7, v8
	ds_write2_b32 v50, v9, v7 offset0:12 offset1:18
	v_sub_f16_e32 v7, v56, v54
	v_sub_f16_e32 v8, v19, v10
	;; [unrolled: 1-line block ×4, first 2 shown]
	v_pack_b32_f16 v6, v7, v9
	v_pack_b32_f16 v5, v8, v5
	ds_write2_b32 v50, v6, v5 offset0:24 offset1:30
	v_mov_b32_e32 v5, 57
	v_mul_lo_u16_sdwa v5, v37, v5 dst_sel:DWORD dst_unused:UNUSED_PAD src0_sel:BYTE_0 src1_sel:DWORD
	v_lshrrev_b16_e32 v16, 11, v5
	v_mul_lo_u16_e32 v5, 36, v16
	v_sub_u16_e32 v5, v37, v5
	v_and_b32_e32 v17, 0xff, v5
	v_mad_u64_u32 v[5:6], s[12:13], v17, 20, s[2:3]
	ds_write2_b32 v50, v55, v59 offset1:6
	s_waitcnt lgkmcnt(0)
	s_barrier
	global_load_dwordx4 v[8:11], v[5:6], off offset:120
	global_load_dword v51, v[5:6], off offset:136
	s_mov_b32 s12, 0xe38f
	v_mul_u32_u24_sdwa v5, v4, s12 dst_sel:DWORD dst_unused:UNUSED_PAD src0_sel:WORD_0 src1_sel:DWORD
	v_lshrrev_b32_e32 v56, 21, v5
	v_mul_lo_u16_e32 v5, 36, v56
	v_sub_u16_e32 v64, v4, v5
	ds_read2_b32 v[4:5], v41 offset0:32 offset1:248
	ds_read2_b32 v[52:53], v35 offset1:216
	ds_read2_b32 v[54:55], v40 offset1:216
	v_mul_lo_u16_e32 v6, 20, v64
	v_add_co_u32_e32 v6, vcc, s2, v6
	v_addc_co_u32_e32 v7, vcc, 0, v57, vcc
	s_waitcnt lgkmcnt(2)
	v_lshrrev_b32_e32 v18, 16, v4
	s_waitcnt lgkmcnt(1)
	v_lshrrev_b32_e32 v57, 16, v52
	;; [unrolled: 2-line block ×3, first 2 shown]
	ds_read2_b32 v[62:63], v34 offset0:16 offset1:232
	v_mul_u32_u24_e32 v16, 0xd8, v16
	v_mad_legacy_u16 v56, v56, s16, v64
	s_waitcnt lgkmcnt(0)
	v_lshrrev_b32_e32 v70, 16, v62
	s_waitcnt vmcnt(1)
	v_mul_f16_sdwa v19, v4, v9 dst_sel:DWORD dst_unused:UNUSED_PAD src0_sel:DWORD src1_sel:WORD_1
	v_mul_f16_sdwa v58, v52, v11 dst_sel:DWORD dst_unused:UNUSED_PAD src0_sel:DWORD src1_sel:WORD_1
	v_fma_f16 v19, v18, v9, v19
	v_fma_f16 v58, v57, v11, v58
	v_add_f16_e32 v60, v59, v19
	v_sub_f16_e32 v66, v19, v58
	v_add_f16_e32 v19, v19, v58
	v_add_f16_e32 v65, v60, v58
	v_fma_f16 v67, v19, -0.5, v59
	ds_read2_b32 v[58:59], v42 offset0:16 offset1:232
	ds_read2_b32 v[60:61], v39 offset0:16 offset1:232
	v_mul_f16_sdwa v18, v18, v9 dst_sel:DWORD dst_unused:UNUSED_PAD src0_sel:DWORD src1_sel:WORD_1
	v_fma_f16 v4, v4, v9, -v18
	v_mul_f16_sdwa v18, v57, v11 dst_sel:DWORD dst_unused:UNUSED_PAD src0_sel:DWORD src1_sel:WORD_1
	v_fma_f16 v18, v52, v11, -v18
	v_add_f16_e32 v19, v54, v4
	v_add_f16_e32 v52, v19, v18
	;; [unrolled: 1-line block ×3, first 2 shown]
	v_sub_f16_e32 v4, v4, v18
	s_waitcnt lgkmcnt(1)
	v_lshrrev_b32_e32 v18, 16, v58
	v_mul_f16_sdwa v57, v58, v8 dst_sel:DWORD dst_unused:UNUSED_PAD src0_sel:DWORD src1_sel:WORD_1
	s_waitcnt lgkmcnt(0)
	v_lshrrev_b32_e32 v68, 16, v60
	v_mul_f16_sdwa v69, v60, v10 dst_sel:DWORD dst_unused:UNUSED_PAD src0_sel:DWORD src1_sel:WORD_1
	s_waitcnt vmcnt(0)
	v_mul_f16_sdwa v71, v62, v51 dst_sel:DWORD dst_unused:UNUSED_PAD src0_sel:DWORD src1_sel:WORD_1
	v_fma_f16 v57, v18, v8, v57
	v_fma_f16 v69, v68, v10, v69
	;; [unrolled: 1-line block ×3, first 2 shown]
	v_add_f16_e32 v72, v57, v69
	v_sub_f16_e32 v73, v69, v71
	v_add_f16_e32 v69, v69, v71
	v_mul_f16_sdwa v18, v18, v8 dst_sel:DWORD dst_unused:UNUSED_PAD src0_sel:DWORD src1_sel:WORD_1
	v_fma_f16 v69, v69, -0.5, v57
	v_fma_f16 v18, v58, v8, -v18
	v_mul_f16_sdwa v57, v68, v10 dst_sel:DWORD dst_unused:UNUSED_PAD src0_sel:DWORD src1_sel:WORD_1
	v_mul_f16_sdwa v58, v70, v51 dst_sel:DWORD dst_unused:UNUSED_PAD src0_sel:DWORD src1_sel:WORD_1
	v_fma_f16 v57, v60, v10, -v57
	v_fma_f16 v58, v62, v51, -v58
	v_add_f16_e32 v60, v57, v58
	v_sub_f16_e32 v68, v57, v58
	v_fma_f16 v60, v60, -0.5, v18
	v_add_f16_e32 v18, v18, v57
	v_fma_f16 v57, v68, s1, v69
	v_add_f16_e32 v62, v18, v58
	v_fma_f16 v18, v73, s0, v60
	v_mul_f16_e32 v58, 0x3aee, v57
	v_add_f16_e32 v72, v72, v71
	v_fma_f16 v70, v18, 0.5, v58
	v_mul_f16_e32 v18, 0xbaee, v18
	v_fma_f16 v54, v19, -0.5, v54
	v_fma_f16 v71, v57, 0.5, v18
	v_add_lshl_u32 v57, v16, v17, 2
	v_add_f16_e32 v16, v52, v62
	v_add_f16_e32 v17, v65, v72
	v_fma_f16 v75, v66, s0, v54
	v_fma_f16 v76, v4, s1, v67
	v_pack_b32_f16 v74, v16, v17
	v_add_f16_e32 v16, v75, v70
	v_add_f16_e32 v17, v76, v71
	v_pack_b32_f16 v77, v16, v17
	global_load_dword v58, v[6:7], off offset:136
	global_load_dwordx4 v[16:19], v[6:7], off offset:120
	v_fma_f16 v7, v73, s1, v60
	v_fma_f16 v6, v66, s1, v54
	v_fma_f16 v54, v68, s0, v69
	v_mul_f16_e32 v60, -0.5, v7
	v_fma_f16 v60, v54, s0, v60
	v_mul_f16_e32 v54, -0.5, v54
	v_fma_f16 v4, v4, s0, v67
	v_fma_f16 v7, v7, s1, v54
	v_sub_f16_e32 v52, v52, v62
	v_sub_f16_e32 v54, v65, v72
	v_add_f16_e32 v62, v6, v60
	v_add_f16_e32 v65, v4, v7
	v_pack_b32_f16 v62, v62, v65
	v_pack_b32_f16 v52, v52, v54
	s_waitcnt vmcnt(0)
	s_barrier
	ds_write2_b32 v57, v62, v52 offset0:72 offset1:108
	v_sub_f16_e32 v52, v75, v70
	v_sub_f16_e32 v6, v6, v60
	;; [unrolled: 1-line block ×4, first 2 shown]
	v_pack_b32_f16 v7, v52, v54
	v_pack_b32_f16 v4, v6, v4
	ds_write2_b32 v57, v7, v4 offset0:144 offset1:180
	v_lshrrev_b32_e32 v4, 16, v59
	ds_write2_b32 v57, v74, v77 offset1:36
	v_mul_f16_sdwa v62, v63, v58 dst_sel:DWORD dst_unused:UNUSED_PAD src0_sel:DWORD src1_sel:WORD_1
	v_mul_f16_sdwa v7, v59, v16 dst_sel:DWORD dst_unused:UNUSED_PAD src0_sel:DWORD src1_sel:WORD_1
	;; [unrolled: 1-line block ×3, first 2 shown]
	v_fma_f16 v4, v4, v16, v7
	v_lshrrev_b32_e32 v7, 16, v5
	v_mul_f16_sdwa v52, v7, v17 dst_sel:DWORD dst_unused:UNUSED_PAD src0_sel:DWORD src1_sel:WORD_1
	v_fma_f16 v52, v5, v17, -v52
	v_mul_f16_sdwa v5, v5, v17 dst_sel:DWORD dst_unused:UNUSED_PAD src0_sel:DWORD src1_sel:WORD_1
	v_fma_f16 v6, v59, v16, -v6
	v_fma_f16 v5, v7, v17, v5
	v_lshrrev_b32_e32 v7, 16, v61
	v_mul_f16_sdwa v59, v61, v18 dst_sel:DWORD dst_unused:UNUSED_PAD src0_sel:DWORD src1_sel:WORD_1
	v_mul_f16_sdwa v54, v7, v18 dst_sel:DWORD dst_unused:UNUSED_PAD src0_sel:DWORD src1_sel:WORD_1
	v_fma_f16 v7, v7, v18, v59
	v_lshrrev_b32_e32 v59, 16, v53
	v_mul_f16_sdwa v60, v59, v19 dst_sel:DWORD dst_unused:UNUSED_PAD src0_sel:DWORD src1_sel:WORD_1
	v_fma_f16 v60, v53, v19, -v60
	v_mul_f16_sdwa v53, v53, v19 dst_sel:DWORD dst_unused:UNUSED_PAD src0_sel:DWORD src1_sel:WORD_1
	v_fma_f16 v53, v59, v19, v53
	v_lshrrev_b32_e32 v59, 16, v63
	v_fma_f16 v54, v61, v18, -v54
	v_mul_f16_sdwa v61, v59, v58 dst_sel:DWORD dst_unused:UNUSED_PAD src0_sel:DWORD src1_sel:WORD_1
	v_fma_f16 v61, v63, v58, -v61
	v_fma_f16 v59, v59, v58, v62
	v_add_f16_e32 v62, v52, v60
	v_lshrrev_b32_e32 v63, 16, v55
	v_fma_f16 v62, v62, -0.5, v55
	v_add_f16_e32 v55, v55, v52
	v_add_f16_e32 v65, v63, v5
	;; [unrolled: 1-line block ×3, first 2 shown]
	v_sub_f16_e32 v66, v5, v53
	v_add_f16_e32 v5, v5, v53
	v_add_f16_e32 v53, v55, v60
	v_sub_f16_e32 v52, v52, v60
	v_add_f16_e32 v55, v4, v7
	v_sub_f16_e32 v60, v7, v59
	v_add_f16_e32 v7, v7, v59
	v_fma_f16 v4, v7, -0.5, v4
	v_add_f16_e32 v7, v54, v61
	v_fma_f16 v7, v7, -0.5, v6
	v_add_f16_e32 v6, v6, v54
	v_sub_f16_e32 v54, v54, v61
	v_add_f16_e32 v6, v6, v61
	v_fma_f16 v61, v54, s1, v4
	v_fma_f16 v5, v5, -0.5, v63
	v_add_f16_e32 v55, v55, v59
	v_fma_f16 v59, v60, s0, v7
	v_mul_f16_e32 v63, 0x3aee, v61
	v_fma_f16 v63, v59, 0.5, v63
	v_mul_f16_e32 v59, 0xbaee, v59
	v_fma_f16 v7, v60, s1, v7
	v_fma_f16 v61, v61, 0.5, v59
	v_add_f16_e32 v59, v53, v6
	v_add_f16_e32 v64, v65, v55
	v_fma_f16 v67, v66, s0, v62
	v_fma_f16 v68, v52, s1, v5
	;; [unrolled: 1-line block ×4, first 2 shown]
	v_mul_f16_e32 v52, -0.5, v7
	v_pack_b32_f16 v64, v59, v64
	v_add_f16_e32 v59, v67, v63
	v_add_f16_e32 v69, v68, v61
	v_fma_f16 v52, v4, s0, v52
	v_mul_f16_e32 v4, -0.5, v4
	v_pack_b32_f16 v69, v59, v69
	v_lshlrev_b32_e32 v59, 2, v56
	v_fma_f16 v56, v66, s1, v62
	v_fma_f16 v4, v7, s1, v4
	v_sub_f16_e32 v6, v53, v6
	v_sub_f16_e32 v7, v65, v55
	v_add_f16_e32 v53, v56, v52
	v_add_f16_e32 v54, v5, v4
	v_pack_b32_f16 v53, v53, v54
	v_pack_b32_f16 v6, v6, v7
	ds_write2_b32 v59, v53, v6 offset0:72 offset1:108
	v_mad_u64_u32 v[53:54], s[2:3], v37, 20, s[2:3]
	v_sub_f16_e32 v6, v67, v63
	v_sub_f16_e32 v7, v56, v52
	;; [unrolled: 1-line block ×4, first 2 shown]
	v_pack_b32_f16 v5, v6, v52
	v_pack_b32_f16 v4, v7, v4
	ds_write2_b32 v59, v64, v69 offset1:36
	ds_write2_b32 v59, v5, v4 offset0:144 offset1:180
	s_waitcnt lgkmcnt(0)
	s_barrier
	global_load_dwordx4 v[4:7], v[53:54], off offset:840
	global_load_dword v52, v[53:54], off offset:856
	ds_read2_b32 v[55:56], v41 offset0:32 offset1:248
	ds_read2_b32 v[60:61], v35 offset1:216
	ds_read2_b32 v[62:63], v40 offset1:216
	s_movk_i32 s2, 0x2880
	s_waitcnt lgkmcnt(2)
	v_lshrrev_b32_e32 v64, 16, v55
	s_waitcnt lgkmcnt(1)
	v_lshrrev_b32_e32 v66, 16, v60
	;; [unrolled: 2-line block ×3, first 2 shown]
	s_waitcnt vmcnt(1)
	v_mul_f16_sdwa v65, v55, v5 dst_sel:DWORD dst_unused:UNUSED_PAD src0_sel:DWORD src1_sel:WORD_1
	v_mul_f16_sdwa v67, v60, v7 dst_sel:DWORD dst_unused:UNUSED_PAD src0_sel:DWORD src1_sel:WORD_1
	v_fma_f16 v65, v64, v5, v65
	v_fma_f16 v67, v66, v7, v67
	v_mul_f16_sdwa v64, v64, v5 dst_sel:DWORD dst_unused:UNUSED_PAD src0_sel:DWORD src1_sel:WORD_1
	v_add_f16_e32 v69, v68, v65
	v_sub_f16_e32 v71, v65, v67
	v_add_f16_e32 v65, v65, v67
	v_fma_f16 v55, v55, v5, -v64
	v_mul_f16_sdwa v64, v66, v7 dst_sel:DWORD dst_unused:UNUSED_PAD src0_sel:DWORD src1_sel:WORD_1
	v_fma_f16 v72, v65, -0.5, v68
	v_fma_f16 v60, v60, v7, -v64
	v_add_f16_e32 v66, v62, v55
	ds_read2_b32 v[64:65], v42 offset0:16 offset1:232
	v_add_f16_e32 v70, v69, v67
	v_add_f16_e32 v73, v66, v60
	ds_read2_b32 v[66:67], v39 offset0:16 offset1:232
	v_add_f16_e32 v74, v55, v60
	v_sub_f16_e32 v55, v55, v60
	s_waitcnt lgkmcnt(1)
	v_lshrrev_b32_e32 v60, 16, v64
	v_mul_f16_sdwa v68, v64, v4 dst_sel:DWORD dst_unused:UNUSED_PAD src0_sel:DWORD src1_sel:WORD_1
	v_fma_f16 v75, v60, v4, v68
	s_waitcnt lgkmcnt(0)
	v_lshrrev_b32_e32 v76, 16, v66
	v_mul_f16_sdwa v68, v66, v6 dst_sel:DWORD dst_unused:UNUSED_PAD src0_sel:DWORD src1_sel:WORD_1
	v_fma_f16 v77, v76, v6, v68
	ds_read2_b32 v[68:69], v34 offset0:16 offset1:232
	v_mul_f16_sdwa v60, v60, v4 dst_sel:DWORD dst_unused:UNUSED_PAD src0_sel:DWORD src1_sel:WORD_1
	v_fma_f16 v60, v64, v4, -v60
	v_mul_f16_sdwa v64, v76, v6 dst_sel:DWORD dst_unused:UNUSED_PAD src0_sel:DWORD src1_sel:WORD_1
	v_fma_f16 v64, v66, v6, -v64
	s_waitcnt lgkmcnt(0)
	v_lshrrev_b32_e32 v78, 16, v68
	s_waitcnt vmcnt(0)
	v_mul_f16_sdwa v79, v68, v52 dst_sel:DWORD dst_unused:UNUSED_PAD src0_sel:DWORD src1_sel:WORD_1
	v_mul_f16_sdwa v66, v78, v52 dst_sel:DWORD dst_unused:UNUSED_PAD src0_sel:DWORD src1_sel:WORD_1
	v_fma_f16 v79, v78, v52, v79
	v_fma_f16 v66, v68, v52, -v66
	v_add_f16_e32 v80, v75, v77
	v_sub_f16_e32 v81, v77, v79
	v_add_f16_e32 v77, v77, v79
	v_add_f16_e32 v68, v64, v66
	v_fma_f16 v75, v77, -0.5, v75
	v_fma_f16 v68, v68, -0.5, v60
	v_add_f16_e32 v60, v60, v64
	v_sub_f16_e32 v64, v64, v66
	v_fma_f16 v76, v64, s1, v75
	v_add_f16_e32 v60, v60, v66
	v_fma_f16 v66, v81, s0, v68
	v_mul_f16_e32 v77, 0x3aee, v76
	v_fma_f16 v62, v74, -0.5, v62
	v_fma_f16 v68, v81, s1, v68
	v_add_f16_e32 v80, v80, v79
	v_fma_f16 v77, v66, 0.5, v77
	v_mul_f16_e32 v66, 0xbaee, v66
	v_fma_f16 v74, v71, s0, v62
	v_fma_f16 v62, v71, s1, v62
	;; [unrolled: 1-line block ×3, first 2 shown]
	v_mul_f16_e32 v71, -0.5, v68
	v_fma_f16 v66, v76, 0.5, v66
	v_add_f16_e32 v76, v73, v60
	v_add_f16_e32 v78, v70, v80
	v_fma_f16 v71, v64, s0, v71
	v_mul_f16_e32 v64, -0.5, v64
	v_pack_b32_f16 v76, v76, v78
	v_fma_f16 v78, v55, s1, v72
	v_fma_f16 v55, v55, s0, v72
	;; [unrolled: 1-line block ×3, first 2 shown]
	v_add_f16_e32 v79, v74, v77
	v_add_f16_e32 v82, v78, v66
	v_sub_f16_e32 v60, v73, v60
	v_sub_f16_e32 v68, v70, v80
	v_add_f16_e32 v70, v62, v71
	v_add_f16_e32 v72, v55, v64
	v_pack_b32_f16 v79, v79, v82
	v_pack_b32_f16 v70, v70, v72
	;; [unrolled: 1-line block ×3, first 2 shown]
	s_barrier
	ds_write2_b32 v40, v76, v79 offset1:216
	ds_write2_b32 v42, v70, v60 offset0:16 offset1:232
	v_sub_f16_e32 v60, v74, v77
	v_sub_f16_e32 v62, v62, v71
	;; [unrolled: 1-line block ×4, first 2 shown]
	v_pack_b32_f16 v60, v60, v66
	v_pack_b32_f16 v55, v62, v55
	ds_write2_b32 v41, v60, v55 offset0:32 offset1:248
	v_lshrrev_b32_e32 v55, 16, v65
	v_mul_f16_sdwa v62, v65, v4 dst_sel:DWORD dst_unused:UNUSED_PAD src0_sel:DWORD src1_sel:WORD_1
	v_mul_f16_sdwa v60, v55, v4 dst_sel:DWORD dst_unused:UNUSED_PAD src0_sel:DWORD src1_sel:WORD_1
	v_fma_f16 v55, v55, v4, v62
	v_lshrrev_b32_e32 v62, 16, v56
	v_mul_f16_sdwa v64, v62, v5 dst_sel:DWORD dst_unused:UNUSED_PAD src0_sel:DWORD src1_sel:WORD_1
	v_fma_f16 v64, v56, v5, -v64
	v_mul_f16_sdwa v56, v56, v5 dst_sel:DWORD dst_unused:UNUSED_PAD src0_sel:DWORD src1_sel:WORD_1
	v_fma_f16 v56, v62, v5, v56
	v_lshrrev_b32_e32 v62, 16, v67
	v_mul_f16_sdwa v66, v67, v6 dst_sel:DWORD dst_unused:UNUSED_PAD src0_sel:DWORD src1_sel:WORD_1
	v_fma_f16 v60, v65, v4, -v60
	v_mul_f16_sdwa v65, v62, v6 dst_sel:DWORD dst_unused:UNUSED_PAD src0_sel:DWORD src1_sel:WORD_1
	v_fma_f16 v62, v62, v6, v66
	v_lshrrev_b32_e32 v66, 16, v61
	v_fma_f16 v65, v67, v6, -v65
	v_mul_f16_sdwa v67, v66, v7 dst_sel:DWORD dst_unused:UNUSED_PAD src0_sel:DWORD src1_sel:WORD_1
	v_fma_f16 v67, v61, v7, -v67
	v_mul_f16_sdwa v61, v61, v7 dst_sel:DWORD dst_unused:UNUSED_PAD src0_sel:DWORD src1_sel:WORD_1
	v_fma_f16 v61, v66, v7, v61
	v_lshrrev_b32_e32 v66, 16, v69
	v_mul_f16_sdwa v68, v66, v52 dst_sel:DWORD dst_unused:UNUSED_PAD src0_sel:DWORD src1_sel:WORD_1
	v_fma_f16 v68, v69, v52, -v68
	v_mul_f16_sdwa v69, v69, v52 dst_sel:DWORD dst_unused:UNUSED_PAD src0_sel:DWORD src1_sel:WORD_1
	v_fma_f16 v66, v66, v52, v69
	v_add_f16_e32 v69, v64, v67
	v_lshrrev_b32_e32 v70, 16, v63
	v_fma_f16 v69, v69, -0.5, v63
	v_add_f16_e32 v63, v63, v64
	v_add_f16_e32 v71, v70, v56
	;; [unrolled: 1-line block ×3, first 2 shown]
	v_sub_f16_e32 v72, v56, v61
	v_add_f16_e32 v56, v56, v61
	v_add_f16_e32 v61, v63, v67
	v_sub_f16_e32 v63, v64, v67
	v_add_f16_e32 v64, v55, v62
	v_sub_f16_e32 v67, v62, v66
	v_add_f16_e32 v62, v62, v66
	v_fma_f16 v55, v62, -0.5, v55
	v_add_f16_e32 v62, v65, v68
	v_fma_f16 v62, v62, -0.5, v60
	v_add_f16_e32 v60, v60, v65
	v_sub_f16_e32 v65, v65, v68
	v_add_f16_e32 v60, v60, v68
	v_fma_f16 v68, v65, s1, v55
	v_fma_f16 v56, v56, -0.5, v70
	v_add_f16_e32 v64, v64, v66
	v_fma_f16 v66, v67, s0, v62
	v_mul_f16_e32 v70, 0x3aee, v68
	v_fma_f16 v70, v66, 0.5, v70
	v_mul_f16_e32 v66, 0xbaee, v66
	v_fma_f16 v66, v68, 0.5, v66
	v_add_f16_e32 v68, v61, v60
	v_add_f16_e32 v73, v71, v64
	v_pack_b32_f16 v68, v68, v73
	v_fma_f16 v73, v72, s0, v69
	v_fma_f16 v74, v63, s1, v56
	;; [unrolled: 1-line block ×3, first 2 shown]
	v_add_f16_e32 v75, v73, v70
	v_add_f16_e32 v76, v74, v66
	v_fma_f16 v56, v63, s0, v56
	v_fma_f16 v55, v65, s0, v55
	v_mul_f16_e32 v63, -0.5, v62
	v_pack_b32_f16 v75, v75, v76
	v_fma_f16 v63, v55, s0, v63
	v_mul_f16_e32 v55, -0.5, v55
	ds_write2_b32 v39, v68, v75 offset0:16 offset1:232
	v_fma_f16 v68, v72, s1, v69
	v_fma_f16 v55, v62, s1, v55
	v_sub_f16_e32 v60, v61, v60
	v_sub_f16_e32 v61, v71, v64
	v_add_f16_e32 v62, v68, v63
	v_add_f16_e32 v64, v56, v55
	v_pack_b32_f16 v62, v62, v64
	v_pack_b32_f16 v60, v60, v61
	ds_write2_b32 v35, v62, v60 offset1:216
	v_sub_f16_e32 v60, v73, v70
	v_sub_f16_e32 v61, v68, v63
	;; [unrolled: 1-line block ×4, first 2 shown]
	v_pack_b32_f16 v56, v60, v62
	v_pack_b32_f16 v55, v61, v55
	ds_write2_b32 v34, v56, v55 offset0:16 offset1:232
	v_lshlrev_b32_e32 v55, 4, v37
	v_sub_co_u32_e32 v62, vcc, v53, v55
	v_subbrev_co_u32_e32 v63, vcc, 0, v54, vcc
	v_add_co_u32_e32 v53, vcc, s7, v62
	v_addc_co_u32_e32 v54, vcc, 0, v63, vcc
	s_waitcnt lgkmcnt(0)
	s_barrier
	global_load_dword v61, v[53:54], off offset:1064
	global_load_dword v60, v[53:54], off offset:1928
	;; [unrolled: 1-line block ×4, first 2 shown]
	v_add_co_u32_e32 v62, vcc, s14, v62
	v_addc_co_u32_e32 v63, vcc, 0, v63, vcc
	global_load_dword v54, v[62:63], off offset:424
	global_load_dword v53, v[62:63], off offset:1288
	ds_read2_b32 v[62:63], v39 offset0:16 offset1:232
	s_movk_i32 s7, 0xffe
	s_waitcnt lgkmcnt(0)
	v_lshrrev_b32_e32 v64, 16, v62
	v_lshrrev_b32_e32 v67, 16, v63
	s_waitcnt vmcnt(5)
	v_mul_f16_sdwa v65, v62, v61 dst_sel:DWORD dst_unused:UNUSED_PAD src0_sel:DWORD src1_sel:WORD_1
	v_fma_f16 v66, v64, v61, v65
	v_mul_f16_sdwa v64, v64, v61 dst_sel:DWORD dst_unused:UNUSED_PAD src0_sel:DWORD src1_sel:WORD_1
	v_fma_f16 v62, v62, v61, -v64
	ds_read2_b32 v[64:65], v40 offset1:216
	s_waitcnt vmcnt(4)
	v_mul_f16_sdwa v68, v67, v60 dst_sel:DWORD dst_unused:UNUSED_PAD src0_sel:DWORD src1_sel:WORD_1
	v_fma_f16 v68, v63, v60, -v68
	v_mul_f16_sdwa v63, v63, v60 dst_sel:DWORD dst_unused:UNUSED_PAD src0_sel:DWORD src1_sel:WORD_1
	v_fma_f16 v63, v67, v60, v63
	s_waitcnt lgkmcnt(0)
	v_lshrrev_b32_e32 v67, 16, v64
	v_sub_f16_e32 v62, v64, v62
	v_sub_f16_e32 v66, v67, v66
	;; [unrolled: 1-line block ×3, first 2 shown]
	v_lshrrev_b32_e32 v68, 16, v65
	v_fma_f16 v64, v64, 2.0, -v62
	v_pack_b32_f16 v62, v62, v66
	ds_write_b32 v40, v62 offset:5184
	v_sub_f16_e32 v62, v68, v63
	v_fma_f16 v65, v65, 2.0, -v72
	v_fma_f16 v67, v67, 2.0, -v66
	v_fma_f16 v63, v68, 2.0, -v62
	v_pack_b32_f16 v73, v64, v67
	v_pack_b32_f16 v63, v65, v63
	ds_read2_b32 v[64:65], v42 offset0:16 offset1:232
	ds_read2_b32 v[66:67], v35 offset1:216
	ds_read2_b32 v[68:69], v41 offset0:32 offset1:248
	ds_read2_b32 v[70:71], v34 offset0:16 offset1:232
	ds_write2_b32 v40, v73, v63 offset1:216
	v_pack_b32_f16 v62, v72, v62
	s_waitcnt lgkmcnt(3)
	v_lshrrev_b32_e32 v63, 16, v66
	s_waitcnt vmcnt(3)
	v_mul_f16_sdwa v72, v66, v56 dst_sel:DWORD dst_unused:UNUSED_PAD src0_sel:DWORD src1_sel:WORD_1
	v_fma_f16 v72, v63, v56, v72
	v_mul_f16_sdwa v63, v63, v56 dst_sel:DWORD dst_unused:UNUSED_PAD src0_sel:DWORD src1_sel:WORD_1
	v_fma_f16 v63, v66, v56, -v63
	v_lshrrev_b32_e32 v73, 16, v64
	v_sub_f16_e32 v66, v64, v63
	v_sub_f16_e32 v72, v73, v72
	v_pack_b32_f16 v74, v66, v72
	v_add_u32_e32 v63, 0x1780, v40
	ds_write2_b32 v63, v62, v74 offset0:8 offset1:224
	v_lshrrev_b32_e32 v62, 16, v67
	s_waitcnt vmcnt(2)
	v_mul_f16_sdwa v74, v62, v55 dst_sel:DWORD dst_unused:UNUSED_PAD src0_sel:DWORD src1_sel:WORD_1
	v_fma_f16 v74, v67, v55, -v74
	v_mul_f16_sdwa v67, v67, v55 dst_sel:DWORD dst_unused:UNUSED_PAD src0_sel:DWORD src1_sel:WORD_1
	v_fma_f16 v62, v62, v55, v67
	v_fma_f16 v67, v73, 2.0, -v72
	v_lshrrev_b32_e32 v72, 16, v65
	v_fma_f16 v64, v64, 2.0, -v66
	v_sub_f16_e32 v66, v65, v74
	v_sub_f16_e32 v62, v72, v62
	v_fma_f16 v65, v65, 2.0, -v66
	v_pack_b32_f16 v64, v64, v67
	v_fma_f16 v67, v72, 2.0, -v62
	v_pack_b32_f16 v65, v65, v67
	ds_write2_b32 v42, v64, v65 offset0:16 offset1:232
	v_pack_b32_f16 v64, v66, v62
	s_waitcnt lgkmcnt(3)
	v_lshrrev_b32_e32 v62, 16, v70
	s_waitcnt vmcnt(1)
	v_mul_f16_sdwa v65, v70, v54 dst_sel:DWORD dst_unused:UNUSED_PAD src0_sel:DWORD src1_sel:WORD_1
	v_fma_f16 v65, v62, v54, v65
	v_mul_f16_sdwa v62, v62, v54 dst_sel:DWORD dst_unused:UNUSED_PAD src0_sel:DWORD src1_sel:WORD_1
	v_fma_f16 v62, v70, v54, -v62
	v_lshrrev_b32_e32 v67, 16, v68
	v_sub_f16_e32 v66, v68, v62
	v_sub_f16_e32 v65, v67, v65
	v_pack_b32_f16 v70, v66, v65
	v_add_u32_e32 v62, 0x1e00, v40
	ds_write2_b32 v62, v64, v70 offset0:24 offset1:240
	v_lshrrev_b32_e32 v64, 16, v71
	s_waitcnt vmcnt(0)
	v_mul_f16_sdwa v70, v64, v53 dst_sel:DWORD dst_unused:UNUSED_PAD src0_sel:DWORD src1_sel:WORD_1
	v_fma_f16 v70, v71, v53, -v70
	v_mul_f16_sdwa v71, v71, v53 dst_sel:DWORD dst_unused:UNUSED_PAD src0_sel:DWORD src1_sel:WORD_1
	v_fma_f16 v64, v64, v53, v71
	v_fma_f16 v66, v68, 2.0, -v66
	v_lshrrev_b32_e32 v68, 16, v69
	v_fma_f16 v65, v67, 2.0, -v65
	v_sub_f16_e32 v67, v69, v70
	v_sub_f16_e32 v64, v68, v64
	v_fma_f16 v69, v69, 2.0, -v67
	v_pack_b32_f16 v65, v66, v65
	v_fma_f16 v66, v68, 2.0, -v64
	v_pack_b32_f16 v66, v69, v66
	v_pack_b32_f16 v64, v67, v64
	ds_write2_b32 v41, v65, v66 offset0:32 offset1:248
	ds_write_b32 v40, v64 offset:9504
	s_waitcnt lgkmcnt(0)
	s_barrier
	global_load_dword v66, v[21:22], off offset:2176
	v_add_co_u32_e32 v21, vcc, s2, v43
	v_addc_co_u32_e32 v22, vcc, 0, v44, vcc
	global_load_dword v67, v[21:22], off offset:864
	s_movk_i32 s2, 0x3000
	v_add_co_u32_e32 v64, vcc, s2, v43
	v_addc_co_u32_e32 v65, vcc, 0, v44, vcc
	global_load_dword v68, v[64:65], off offset:3264
	global_load_dword v69, v[21:22], off offset:3456
	;; [unrolled: 1-line block ×5, first 2 shown]
	s_movk_i32 s2, 0x4000
	v_add_co_u32_e32 v21, vcc, s2, v43
	v_addc_co_u32_e32 v22, vcc, 0, v44, vcc
	global_load_dword v64, v[21:22], off offset:32
	global_load_dword v65, v[21:22], off offset:896
	;; [unrolled: 1-line block ×5, first 2 shown]
	ds_read2_b32 v[43:44], v40 offset1:216
	s_mov_b32 s2, 0xb8003800
	s_waitcnt lgkmcnt(0)
	v_lshrrev_b32_e32 v21, 16, v43
	s_waitcnt vmcnt(11)
	v_mul_f16_sdwa v22, v43, v66 dst_sel:DWORD dst_unused:UNUSED_PAD src0_sel:DWORD src1_sel:WORD_1
	v_fma_f16 v22, v21, v66, v22
	v_mul_f16_sdwa v21, v21, v66 dst_sel:DWORD dst_unused:UNUSED_PAD src0_sel:DWORD src1_sel:WORD_1
	v_fma_f16 v21, v43, v66, -v21
	v_pack_b32_f16 v21, v21, v22
	ds_write_b32 v40, v21
	ds_read2_b32 v[21:22], v42 offset0:16 offset1:232
	v_lshrrev_b32_e32 v43, 16, v44
	s_waitcnt vmcnt(10)
	v_mul_f16_sdwa v66, v43, v67 dst_sel:DWORD dst_unused:UNUSED_PAD src0_sel:DWORD src1_sel:WORD_1
	v_fma_f16 v66, v44, v67, -v66
	v_mul_f16_sdwa v44, v44, v67 dst_sel:DWORD dst_unused:UNUSED_PAD src0_sel:DWORD src1_sel:WORD_1
	v_fma_f16 v43, v43, v67, v44
	s_waitcnt lgkmcnt(0)
	v_lshrrev_b32_e32 v44, 16, v21
	s_waitcnt vmcnt(7)
	v_mul_f16_sdwa v67, v21, v70 dst_sel:DWORD dst_unused:UNUSED_PAD src0_sel:DWORD src1_sel:WORD_1
	v_fma_f16 v67, v44, v70, v67
	v_mul_f16_sdwa v44, v44, v70 dst_sel:DWORD dst_unused:UNUSED_PAD src0_sel:DWORD src1_sel:WORD_1
	v_fma_f16 v21, v21, v70, -v44
	v_pack_b32_f16 v21, v21, v67
	v_pack_b32_f16 v43, v66, v43
	v_add_u32_e32 v44, 0x300, v40
	ds_write2_b32 v44, v43, v21 offset0:24 offset1:240
	ds_read2_b32 v[43:44], v41 offset0:32 offset1:248
	v_lshrrev_b32_e32 v21, 16, v22
	s_waitcnt vmcnt(6)
	v_mul_f16_sdwa v66, v21, v71 dst_sel:DWORD dst_unused:UNUSED_PAD src0_sel:DWORD src1_sel:WORD_1
	v_fma_f16 v66, v22, v71, -v66
	v_mul_f16_sdwa v22, v22, v71 dst_sel:DWORD dst_unused:UNUSED_PAD src0_sel:DWORD src1_sel:WORD_1
	v_fma_f16 v21, v21, v71, v22
	s_waitcnt lgkmcnt(0)
	v_lshrrev_b32_e32 v22, 16, v43
	v_mul_f16_sdwa v67, v43, v69 dst_sel:DWORD dst_unused:UNUSED_PAD src0_sel:DWORD src1_sel:WORD_1
	v_fma_f16 v67, v22, v69, v67
	v_mul_f16_sdwa v22, v22, v69 dst_sel:DWORD dst_unused:UNUSED_PAD src0_sel:DWORD src1_sel:WORD_1
	v_fma_f16 v22, v43, v69, -v22
	v_pack_b32_f16 v22, v22, v67
	v_pack_b32_f16 v21, v66, v21
	v_add_u32_e32 v43, 0xa00, v40
	ds_write2_b32 v43, v21, v22 offset0:8 offset1:224
	ds_read2_b32 v[21:22], v39 offset0:16 offset1:232
	v_lshrrev_b32_e32 v43, 16, v44
	s_waitcnt vmcnt(5)
	v_mul_f16_sdwa v66, v43, v72 dst_sel:DWORD dst_unused:UNUSED_PAD src0_sel:DWORD src1_sel:WORD_1
	v_fma_f16 v66, v44, v72, -v66
	v_mul_f16_sdwa v44, v44, v72 dst_sel:DWORD dst_unused:UNUSED_PAD src0_sel:DWORD src1_sel:WORD_1
	v_fma_f16 v43, v43, v72, v44
	s_waitcnt lgkmcnt(0)
	v_lshrrev_b32_e32 v44, 16, v21
	v_mul_f16_sdwa v67, v21, v68 dst_sel:DWORD dst_unused:UNUSED_PAD src0_sel:DWORD src1_sel:WORD_1
	v_fma_f16 v67, v44, v68, v67
	v_mul_f16_sdwa v44, v44, v68 dst_sel:DWORD dst_unused:UNUSED_PAD src0_sel:DWORD src1_sel:WORD_1
	v_fma_f16 v21, v21, v68, -v44
	v_pack_b32_f16 v21, v21, v67
	v_pack_b32_f16 v43, v66, v43
	v_add_u32_e32 v44, 0x1080, v40
	ds_write2_b32 v44, v43, v21 offset0:24 offset1:240
	ds_read2_b32 v[43:44], v35 offset1:216
	v_lshrrev_b32_e32 v21, 16, v22
	s_waitcnt vmcnt(4)
	v_mul_f16_sdwa v66, v21, v64 dst_sel:DWORD dst_unused:UNUSED_PAD src0_sel:DWORD src1_sel:WORD_1
	v_fma_f16 v66, v22, v64, -v66
	v_mul_f16_sdwa v22, v22, v64 dst_sel:DWORD dst_unused:UNUSED_PAD src0_sel:DWORD src1_sel:WORD_1
	v_fma_f16 v21, v21, v64, v22
	s_waitcnt lgkmcnt(0)
	v_lshrrev_b32_e32 v22, 16, v43
	s_waitcnt vmcnt(3)
	v_mul_f16_sdwa v64, v43, v65 dst_sel:DWORD dst_unused:UNUSED_PAD src0_sel:DWORD src1_sel:WORD_1
	v_fma_f16 v64, v22, v65, v64
	v_mul_f16_sdwa v22, v22, v65 dst_sel:DWORD dst_unused:UNUSED_PAD src0_sel:DWORD src1_sel:WORD_1
	v_fma_f16 v22, v43, v65, -v22
	v_pack_b32_f16 v22, v22, v64
	v_pack_b32_f16 v21, v66, v21
	ds_write2_b32 v63, v21, v22 offset0:8 offset1:224
	ds_read2_b32 v[21:22], v34 offset0:16 offset1:232
	v_lshrrev_b32_e32 v43, 16, v44
	s_waitcnt vmcnt(2)
	v_mul_f16_sdwa v64, v43, v73 dst_sel:DWORD dst_unused:UNUSED_PAD src0_sel:DWORD src1_sel:WORD_1
	v_fma_f16 v64, v44, v73, -v64
	v_mul_f16_sdwa v44, v44, v73 dst_sel:DWORD dst_unused:UNUSED_PAD src0_sel:DWORD src1_sel:WORD_1
	v_fma_f16 v43, v43, v73, v44
	s_waitcnt lgkmcnt(0)
	v_lshrrev_b32_e32 v44, 16, v21
	s_waitcnt vmcnt(1)
	v_mul_f16_sdwa v65, v21, v74 dst_sel:DWORD dst_unused:UNUSED_PAD src0_sel:DWORD src1_sel:WORD_1
	v_fma_f16 v65, v44, v74, v65
	v_mul_f16_sdwa v44, v44, v74 dst_sel:DWORD dst_unused:UNUSED_PAD src0_sel:DWORD src1_sel:WORD_1
	v_fma_f16 v21, v21, v74, -v44
	v_pack_b32_f16 v21, v21, v65
	v_pack_b32_f16 v43, v64, v43
	ds_write2_b32 v62, v43, v21 offset0:24 offset1:240
	v_lshrrev_b32_e32 v21, 16, v22
	s_waitcnt vmcnt(0)
	v_mul_f16_sdwa v43, v21, v75 dst_sel:DWORD dst_unused:UNUSED_PAD src0_sel:DWORD src1_sel:WORD_1
	v_fma_f16 v43, v22, v75, -v43
	v_mul_f16_sdwa v22, v22, v75 dst_sel:DWORD dst_unused:UNUSED_PAD src0_sel:DWORD src1_sel:WORD_1
	v_fma_f16 v21, v21, v75, v22
	v_pack_b32_f16 v21, v43, v21
	ds_write_b32 v40, v21 offset:9504
	s_waitcnt lgkmcnt(0)
	s_barrier
	ds_read2_b32 v[21:22], v41 offset0:32 offset1:248
	ds_read2_b32 v[43:44], v35 offset1:216
	ds_read2_b32 v[64:65], v40 offset1:216
	s_waitcnt lgkmcnt(1)
	v_pk_add_f16 v66, v21, v43
	s_waitcnt lgkmcnt(0)
	v_pk_fma_f16 v72, v66, 0.5, v64 op_sel_hi:[1,0,1] neg_lo:[1,0,0] neg_hi:[1,0,0]
	ds_read2_b32 v[66:67], v39 offset0:16 offset1:232
	ds_read2_b32 v[68:69], v34 offset0:16 offset1:232
	;; [unrolled: 1-line block ×3, first 2 shown]
	v_pk_add_f16 v73, v21, v43 neg_lo:[0,1] neg_hi:[0,1]
	v_pk_fma_f16 v76, v73, s0, v72 op_sel:[0,0,1] op_sel_hi:[1,0,0] neg_lo:[1,0,0] neg_hi:[1,0,0]
	v_pk_fma_f16 v77, v73, s0, v72 op_sel:[0,0,1] op_sel_hi:[1,0,0]
	s_waitcnt lgkmcnt(1)
	v_pk_add_f16 v72, v66, v68
	s_waitcnt lgkmcnt(0)
	v_pk_fma_f16 v72, v72, 0.5, v70 op_sel_hi:[1,0,1] neg_lo:[1,0,0] neg_hi:[1,0,0]
	v_pk_add_f16 v73, v66, v68 neg_lo:[0,1] neg_hi:[0,1]
	v_pk_fma_f16 v74, v73, s0, v72 op_sel:[0,0,1] op_sel_hi:[1,0,0]
	v_pk_fma_f16 v72, v73, s0, v72 op_sel:[0,0,1] op_sel_hi:[1,0,0] neg_lo:[1,0,0] neg_hi:[1,0,0]
	v_lshrrev_b32_e32 v73, 16, v72
	v_mul_f16_e32 v75, 0xbaee, v74
	v_fma_f16 v78, v73, 0.5, v75
	v_pk_mul_f16 v73, v72, s0 op_sel_hi:[1,0]
	v_pk_add_f16 v21, v64, v21
	v_pk_fma_f16 v79, v74, s2, v73 op_sel:[0,0,1] op_sel_hi:[1,1,0]
	v_pk_fma_f16 v80, v74, s2, v73 op_sel:[0,0,1] op_sel_hi:[1,1,0] neg_lo:[0,0,1] neg_hi:[0,0,1]
	v_lshrrev_b32_e32 v73, 16, v74
	v_mul_f16_e32 v72, -0.5, v72
	v_pk_add_f16 v21, v21, v43
	v_pk_add_f16 v43, v70, v66
	v_fma_f16 v81, v73, s0, v72
	v_pk_add_f16 v43, v43, v68
	v_bfi_b32 v64, s6, v79, v80
	v_pk_add_f16 v64, v77, v64
	v_add_f16_e32 v66, v76, v81
	v_pk_add_f16 v73, v21, v43 neg_lo:[0,1] neg_hi:[0,1]
	v_pk_add_f16 v74, v21, v43
	v_add_f16_sdwa v21, v76, v78 dst_sel:DWORD dst_unused:UNUSED_PAD src0_sel:WORD_1 src1_sel:DWORD
	v_alignbit_b32 v72, v66, v64, 16
	v_pack_b32_f16 v75, v21, v64
	v_pack_b32_f16 v21, v78, v79
	v_alignbit_b32 v43, v77, v76, 16
	v_alignbit_b32 v64, v76, v77, 16
	;; [unrolled: 1-line block ×3, first 2 shown]
	s_barrier
	ds_write2_b64 v46, v[74:75], v[72:73] offset1:1
	v_pk_add_f16 v72, v43, v21 neg_lo:[0,1] neg_hi:[0,1]
	v_pk_add_f16 v73, v64, v66 neg_lo:[0,1] neg_hi:[0,1]
	v_pk_add_f16 v21, v65, v22
	ds_write_b64 v46, v[72:73] offset:16
	v_pk_add_f16 v43, v22, v44
	v_pk_add_f16 v22, v22, v44 neg_lo:[0,1] neg_hi:[0,1]
	v_pk_add_f16 v44, v21, v44
	v_pk_add_f16 v21, v71, v67
	;; [unrolled: 1-line block ×3, first 2 shown]
	v_pk_add_f16 v64, v67, v69 neg_lo:[0,1] neg_hi:[0,1]
	v_pk_add_f16 v66, v21, v69
	v_pk_fma_f16 v21, v43, 0.5, v65 op_sel_hi:[1,0,1] neg_lo:[1,0,0] neg_hi:[1,0,0]
	v_pk_fma_f16 v43, v46, 0.5, v71 op_sel_hi:[1,0,1] neg_lo:[1,0,0] neg_hi:[1,0,0]
	v_pk_fma_f16 v46, v22, s0, v21 op_sel:[0,0,1] op_sel_hi:[1,0,0] neg_lo:[1,0,0] neg_hi:[1,0,0]
	v_pk_fma_f16 v65, v22, s0, v21 op_sel:[0,0,1] op_sel_hi:[1,0,0]
	v_pk_fma_f16 v21, v64, s0, v43 op_sel:[0,0,1] op_sel_hi:[1,0,0]
	v_pk_fma_f16 v22, v64, s0, v43 op_sel:[0,0,1] op_sel_hi:[1,0,0] neg_lo:[1,0,0] neg_hi:[1,0,0]
	v_lshrrev_b32_e32 v43, 16, v22
	v_mul_f16_e32 v64, 0xbaee, v21
	v_fma_f16 v64, v43, 0.5, v64
	v_pk_mul_f16 v43, v22, s0 op_sel_hi:[1,0]
	v_pk_fma_f16 v67, v21, s2, v43 op_sel:[0,0,1] op_sel_hi:[1,1,0]
	v_pk_fma_f16 v68, v21, s2, v43 op_sel:[0,0,1] op_sel_hi:[1,1,0] neg_lo:[0,0,1] neg_hi:[0,0,1]
	v_lshrrev_b32_e32 v21, 16, v21
	v_mul_f16_e32 v22, -0.5, v22
	v_fma_f16 v69, v21, s0, v22
	v_bfi_b32 v21, s6, v67, v68
	v_pk_add_f16 v70, v65, v21
	v_add_f16_e32 v21, v46, v69
	v_pk_add_f16 v22, v44, v66 neg_lo:[0,1] neg_hi:[0,1]
	v_pk_add_f16 v43, v44, v66
	v_add_f16_sdwa v44, v46, v64 dst_sel:DWORD dst_unused:UNUSED_PAD src0_sel:WORD_1 src1_sel:DWORD
	v_alignbit_b32 v21, v21, v70, 16
	v_pack_b32_f16 v44, v44, v70
	ds_write2_b64 v47, v[43:44], v[21:22] offset1:1
	v_pack_b32_f16 v21, v64, v67
	v_alignbit_b32 v22, v65, v46, 16
	v_alignbit_b32 v43, v46, v65, 16
	;; [unrolled: 1-line block ×3, first 2 shown]
	v_pk_add_f16 v21, v22, v21 neg_lo:[0,1] neg_hi:[0,1]
	v_pk_add_f16 v22, v43, v44 neg_lo:[0,1] neg_hi:[0,1]
	ds_write_b64 v47, v[21:22] offset:16
	s_waitcnt lgkmcnt(0)
	s_barrier
	ds_read2_b32 v[21:22], v42 offset0:16 offset1:232
	ds_read2_b32 v[43:44], v41 offset0:32 offset1:248
	s_mov_b32 s2, 0xfcd6e9e0
	s_mov_b32 s3, 0x3f3948b0
	s_movk_i32 s6, 0x1ff
	s_waitcnt lgkmcnt(1)
	v_lshrrev_b32_e32 v46, 16, v21
	v_mul_f16_sdwa v47, v0, v21 dst_sel:DWORD dst_unused:UNUSED_PAD src0_sel:WORD_1 src1_sel:DWORD
	v_fma_f16 v64, v0, v46, -v47
	v_mul_f16_sdwa v46, v0, v46 dst_sel:DWORD dst_unused:UNUSED_PAD src0_sel:WORD_1 src1_sel:DWORD
	v_fma_f16 v21, v0, v21, v46
	s_waitcnt lgkmcnt(0)
	v_lshrrev_b32_e32 v0, 16, v43
	ds_read2_b32 v[46:47], v39 offset0:16 offset1:232
	v_mul_f16_sdwa v65, v1, v43 dst_sel:DWORD dst_unused:UNUSED_PAD src0_sel:WORD_1 src1_sel:DWORD
	v_fma_f16 v65, v1, v0, -v65
	v_mul_f16_sdwa v0, v1, v0 dst_sel:DWORD dst_unused:UNUSED_PAD src0_sel:WORD_1 src1_sel:DWORD
	v_fma_f16 v43, v1, v43, v0
	ds_read2_b32 v[0:1], v35 offset1:216
	s_waitcnt lgkmcnt(1)
	v_lshrrev_b32_e32 v66, 16, v46
	v_mul_f16_sdwa v67, v2, v46 dst_sel:DWORD dst_unused:UNUSED_PAD src0_sel:WORD_1 src1_sel:DWORD
	v_fma_f16 v67, v2, v66, -v67
	v_mul_f16_sdwa v66, v2, v66 dst_sel:DWORD dst_unused:UNUSED_PAD src0_sel:WORD_1 src1_sel:DWORD
	v_fma_f16 v46, v2, v46, v66
	s_waitcnt lgkmcnt(0)
	v_lshrrev_b32_e32 v2, 16, v0
	v_mul_f16_sdwa v66, v3, v0 dst_sel:DWORD dst_unused:UNUSED_PAD src0_sel:WORD_1 src1_sel:DWORD
	v_fma_f16 v66, v3, v2, -v66
	v_mul_f16_sdwa v2, v3, v2 dst_sel:DWORD dst_unused:UNUSED_PAD src0_sel:WORD_1 src1_sel:DWORD
	v_fma_f16 v68, v3, v0, v2
	v_lshrrev_b32_e32 v0, 16, v22
	v_mul_f16_sdwa v2, v12, v0 dst_sel:DWORD dst_unused:UNUSED_PAD src0_sel:WORD_1 src1_sel:DWORD
	v_fma_f16 v69, v12, v22, v2
	v_mul_f16_sdwa v2, v12, v22 dst_sel:DWORD dst_unused:UNUSED_PAD src0_sel:WORD_1 src1_sel:DWORD
	v_fma_f16 v12, v12, v0, -v2
	v_lshrrev_b32_e32 v0, 16, v44
	v_mul_f16_sdwa v2, v13, v0 dst_sel:DWORD dst_unused:UNUSED_PAD src0_sel:WORD_1 src1_sel:DWORD
	v_fma_f16 v22, v13, v44, v2
	v_mul_f16_sdwa v2, v13, v44 dst_sel:DWORD dst_unused:UNUSED_PAD src0_sel:WORD_1 src1_sel:DWORD
	v_fma_f16 v13, v13, v0, -v2
	;; [unrolled: 5-line block ×3, first 2 shown]
	v_lshrrev_b32_e32 v0, 16, v1
	ds_read2_b32 v[2:3], v34 offset0:16 offset1:232
	v_mul_f16_sdwa v47, v15, v0 dst_sel:DWORD dst_unused:UNUSED_PAD src0_sel:WORD_1 src1_sel:DWORD
	v_fma_f16 v47, v15, v1, v47
	v_mul_f16_sdwa v1, v15, v1 dst_sel:DWORD dst_unused:UNUSED_PAD src0_sel:WORD_1 src1_sel:DWORD
	v_fma_f16 v15, v15, v0, -v1
	ds_read2_b32 v[0:1], v40 offset1:216
	s_waitcnt lgkmcnt(1)
	v_lshrrev_b32_e32 v70, 16, v2
	v_mul_f16_sdwa v71, v45, v2 dst_sel:DWORD dst_unused:UNUSED_PAD src0_sel:WORD_1 src1_sel:DWORD
	v_fma_f16 v71, v45, v70, -v71
	v_mul_f16_sdwa v70, v45, v70 dst_sel:DWORD dst_unused:UNUSED_PAD src0_sel:WORD_1 src1_sel:DWORD
	v_fma_f16 v2, v45, v2, v70
	s_waitcnt lgkmcnt(0)
	v_lshrrev_b32_e32 v45, 16, v0
	v_add_f16_e32 v70, v45, v65
	v_sub_f16_e32 v72, v65, v66
	v_add_f16_e32 v65, v65, v66
	v_fma_f16 v45, v65, -0.5, v45
	v_add_f16_e32 v65, v0, v43
	v_add_f16_e32 v70, v70, v66
	;; [unrolled: 1-line block ×4, first 2 shown]
	v_sub_f16_e32 v43, v43, v68
	v_add_f16_e32 v68, v64, v67
	v_sub_f16_e32 v73, v67, v71
	v_add_f16_e32 v67, v67, v71
	v_fma_f16 v64, v67, -0.5, v64
	v_add_f16_e32 v67, v46, v2
	v_fma_f16 v67, v67, -0.5, v21
	v_add_f16_e32 v21, v21, v46
	v_add_f16_e32 v21, v21, v2
	v_sub_f16_e32 v2, v46, v2
	v_add_f16_e32 v68, v68, v71
	v_fma_f16 v71, v2, s0, v64
	v_fma_f16 v46, v73, s1, v67
	v_mul_f16_e32 v74, 0xbaee, v71
	v_mul_f16_e32 v71, 0.5, v71
	v_fma_f16 v74, v46, 0.5, v74
	v_fma_f16 v46, v46, s0, v71
	v_add_f16_e32 v71, v65, v21
	v_add_f16_e32 v75, v70, v68
	v_fma_f16 v2, v2, s1, v64
	v_pack_b32_f16 v71, v71, v75
	v_fma_f16 v0, v66, -0.5, v0
	v_fma_f16 v75, v43, s0, v45
	v_fma_f16 v43, v43, s1, v45
	;; [unrolled: 1-line block ×3, first 2 shown]
	v_mul_f16_e32 v64, 0xbaee, v2
	v_mul_f16_e32 v2, -0.5, v2
	v_fma_f16 v66, v72, s1, v0
	v_fma_f16 v0, v72, s0, v0
	v_fma_f16 v64, v45, -0.5, v64
	v_fma_f16 v2, v45, s0, v2
	v_sub_f16_e32 v21, v65, v21
	v_sub_f16_e32 v45, v70, v68
	v_add_f16_e32 v65, v0, v64
	v_add_f16_e32 v67, v43, v2
	v_pack_b32_f16 v65, v65, v67
	v_pack_b32_f16 v21, v21, v45
	s_barrier
	ds_write2_b32 v49, v65, v21 offset0:12 offset1:18
	v_sub_f16_e32 v21, v66, v74
	v_sub_f16_e32 v0, v0, v64
	;; [unrolled: 1-line block ×4, first 2 shown]
	v_pack_b32_f16 v21, v21, v45
	v_pack_b32_f16 v0, v0, v2
	ds_write2_b32 v49, v21, v0 offset0:24 offset1:30
	v_lshrrev_b32_e32 v0, 16, v3
	v_mul_f16_sdwa v2, v48, v0 dst_sel:DWORD dst_unused:UNUSED_PAD src0_sel:WORD_1 src1_sel:DWORD
	v_lshrrev_b32_e32 v21, 16, v1
	v_fma_f16 v2, v48, v3, v2
	v_mul_f16_sdwa v3, v48, v3 dst_sel:DWORD dst_unused:UNUSED_PAD src0_sel:WORD_1 src1_sel:DWORD
	v_add_f16_e32 v43, v21, v13
	v_sub_f16_e32 v45, v13, v15
	v_add_f16_e32 v13, v13, v15
	v_fma_f16 v0, v48, v0, -v3
	v_add_f16_e32 v3, v22, v47
	v_fma_f16 v13, v13, -0.5, v21
	v_add_f16_e32 v21, v12, v14
	v_fma_f16 v3, v3, -0.5, v1
	v_add_f16_e32 v1, v1, v22
	v_add_f16_e32 v43, v43, v15
	v_sub_f16_e32 v15, v22, v47
	v_add_f16_e32 v21, v21, v0
	v_sub_f16_e32 v22, v14, v0
	v_add_f16_e32 v0, v14, v0
	v_add_f16_e32 v14, v69, v44
	v_fma_f16 v0, v0, -0.5, v12
	v_add_f16_e32 v12, v44, v2
	v_add_f16_e32 v14, v14, v2
	v_sub_f16_e32 v2, v44, v2
	v_add_f16_e32 v77, v75, v46
	v_fma_f16 v12, v12, -0.5, v69
	v_fma_f16 v46, v2, s0, v0
	v_add_f16_e32 v76, v66, v74
	v_add_f16_e32 v1, v1, v47
	v_fma_f16 v44, v22, s1, v12
	v_mul_f16_e32 v47, 0xbaee, v46
	v_mul_f16_e32 v46, 0.5, v46
	v_fma_f16 v0, v2, s1, v0
	v_pack_b32_f16 v76, v76, v77
	v_fma_f16 v47, v44, 0.5, v47
	v_fma_f16 v44, v44, s0, v46
	v_add_f16_e32 v46, v1, v14
	v_add_f16_e32 v48, v43, v21
	v_fma_f16 v12, v22, s0, v12
	v_mul_f16_e32 v2, 0xbaee, v0
	v_mul_f16_e32 v0, -0.5, v0
	ds_write2_b32 v49, v71, v76 offset1:6
	v_pack_b32_f16 v46, v46, v48
	v_fma_f16 v48, v45, s1, v3
	v_fma_f16 v49, v15, s0, v13
	;; [unrolled: 1-line block ×4, first 2 shown]
	v_fma_f16 v2, v12, -0.5, v2
	v_fma_f16 v0, v12, s0, v0
	v_sub_f16_e32 v1, v1, v14
	v_sub_f16_e32 v12, v43, v21
	v_add_f16_e32 v14, v3, v2
	v_add_f16_e32 v15, v13, v0
	v_pack_b32_f16 v14, v14, v15
	v_pack_b32_f16 v1, v1, v12
	v_add_f16_e32 v64, v48, v47
	v_add_f16_e32 v65, v49, v44
	ds_write2_b32 v50, v14, v1 offset0:12 offset1:18
	v_sub_f16_e32 v1, v48, v47
	v_sub_f16_e32 v2, v3, v2
	;; [unrolled: 1-line block ×4, first 2 shown]
	v_pack_b32_f16 v64, v64, v65
	v_pack_b32_f16 v1, v1, v3
	;; [unrolled: 1-line block ×3, first 2 shown]
	ds_write2_b32 v50, v46, v64 offset1:6
	ds_write2_b32 v50, v1, v0 offset0:24 offset1:30
	s_waitcnt lgkmcnt(0)
	s_barrier
	ds_read2_b32 v[0:1], v42 offset0:16 offset1:232
	ds_read2_b32 v[2:3], v41 offset0:32 offset1:248
	s_waitcnt lgkmcnt(1)
	v_lshrrev_b32_e32 v12, 16, v0
	v_mul_f16_sdwa v13, v8, v0 dst_sel:DWORD dst_unused:UNUSED_PAD src0_sel:WORD_1 src1_sel:DWORD
	v_fma_f16 v14, v8, v12, -v13
	v_mul_f16_sdwa v12, v8, v12 dst_sel:DWORD dst_unused:UNUSED_PAD src0_sel:WORD_1 src1_sel:DWORD
	v_fma_f16 v15, v8, v0, v12
	s_waitcnt lgkmcnt(0)
	v_lshrrev_b32_e32 v0, 16, v2
	ds_read2_b32 v[12:13], v39 offset0:16 offset1:232
	v_mul_f16_sdwa v8, v9, v2 dst_sel:DWORD dst_unused:UNUSED_PAD src0_sel:WORD_1 src1_sel:DWORD
	v_fma_f16 v21, v9, v0, -v8
	v_mul_f16_sdwa v0, v9, v0 dst_sel:DWORD dst_unused:UNUSED_PAD src0_sel:WORD_1 src1_sel:DWORD
	v_fma_f16 v22, v9, v2, v0
	ds_read2_b32 v[8:9], v35 offset1:216
	s_waitcnt lgkmcnt(1)
	v_lshrrev_b32_e32 v0, 16, v12
	v_mul_f16_sdwa v2, v10, v12 dst_sel:DWORD dst_unused:UNUSED_PAD src0_sel:WORD_1 src1_sel:DWORD
	v_fma_f16 v43, v10, v0, -v2
	v_mul_f16_sdwa v0, v10, v0 dst_sel:DWORD dst_unused:UNUSED_PAD src0_sel:WORD_1 src1_sel:DWORD
	v_fma_f16 v10, v10, v12, v0
	s_waitcnt lgkmcnt(0)
	v_lshrrev_b32_e32 v0, 16, v8
	v_mul_f16_sdwa v2, v11, v8 dst_sel:DWORD dst_unused:UNUSED_PAD src0_sel:WORD_1 src1_sel:DWORD
	v_fma_f16 v12, v11, v0, -v2
	v_mul_f16_sdwa v0, v11, v0 dst_sel:DWORD dst_unused:UNUSED_PAD src0_sel:WORD_1 src1_sel:DWORD
	v_fma_f16 v8, v11, v8, v0
	v_lshrrev_b32_e32 v0, 16, v1
	v_mul_f16_sdwa v2, v16, v0 dst_sel:DWORD dst_unused:UNUSED_PAD src0_sel:WORD_1 src1_sel:DWORD
	v_fma_f16 v11, v16, v1, v2
	v_mul_f16_sdwa v1, v16, v1 dst_sel:DWORD dst_unused:UNUSED_PAD src0_sel:WORD_1 src1_sel:DWORD
	v_fma_f16 v16, v16, v0, -v1
	v_lshrrev_b32_e32 v0, 16, v3
	v_mul_f16_sdwa v1, v17, v0 dst_sel:DWORD dst_unused:UNUSED_PAD src0_sel:WORD_1 src1_sel:DWORD
	v_fma_f16 v44, v17, v3, v1
	v_mul_f16_sdwa v1, v17, v3 dst_sel:DWORD dst_unused:UNUSED_PAD src0_sel:WORD_1 src1_sel:DWORD
	v_fma_f16 v17, v17, v0, -v1
	v_lshrrev_b32_e32 v0, 16, v13
	v_mul_f16_sdwa v1, v18, v0 dst_sel:DWORD dst_unused:UNUSED_PAD src0_sel:WORD_1 src1_sel:DWORD
	v_fma_f16 v45, v18, v13, v1
	v_mul_f16_sdwa v1, v18, v13 dst_sel:DWORD dst_unused:UNUSED_PAD src0_sel:WORD_1 src1_sel:DWORD
	v_lshrrev_b32_e32 v2, 16, v9
	v_fma_f16 v13, v18, v0, -v1
	ds_read2_b32 v[0:1], v34 offset0:16 offset1:232
	v_mul_f16_sdwa v3, v19, v2 dst_sel:DWORD dst_unused:UNUSED_PAD src0_sel:WORD_1 src1_sel:DWORD
	v_fma_f16 v18, v19, v9, v3
	v_mul_f16_sdwa v3, v19, v9 dst_sel:DWORD dst_unused:UNUSED_PAD src0_sel:WORD_1 src1_sel:DWORD
	v_fma_f16 v9, v19, v2, -v3
	ds_read2_b32 v[2:3], v40 offset1:216
	s_waitcnt lgkmcnt(1)
	v_lshrrev_b32_e32 v19, 16, v0
	v_mul_f16_sdwa v46, v51, v0 dst_sel:DWORD dst_unused:UNUSED_PAD src0_sel:WORD_1 src1_sel:DWORD
	v_fma_f16 v46, v51, v19, -v46
	v_mul_f16_sdwa v19, v51, v19 dst_sel:DWORD dst_unused:UNUSED_PAD src0_sel:WORD_1 src1_sel:DWORD
	v_fma_f16 v0, v51, v0, v19
	s_waitcnt lgkmcnt(0)
	v_lshrrev_b32_e32 v19, 16, v2
	v_add_f16_e32 v47, v19, v21
	v_add_f16_e32 v47, v47, v12
	v_sub_f16_e32 v48, v21, v12
	v_add_f16_e32 v12, v21, v12
	v_fma_f16 v12, v12, -0.5, v19
	v_add_f16_e32 v19, v2, v22
	v_add_f16_e32 v19, v19, v8
	;; [unrolled: 1-line block ×3, first 2 shown]
	v_sub_f16_e32 v8, v22, v8
	v_add_f16_e32 v22, v14, v43
	v_sub_f16_e32 v49, v43, v46
	v_add_f16_e32 v43, v43, v46
	v_fma_f16 v14, v43, -0.5, v14
	v_add_f16_e32 v43, v10, v0
	v_fma_f16 v43, v43, -0.5, v15
	v_add_f16_e32 v15, v15, v10
	v_add_f16_e32 v15, v15, v0
	v_sub_f16_e32 v0, v10, v0
	v_add_f16_e32 v22, v22, v46
	v_fma_f16 v46, v0, s0, v14
	v_fma_f16 v10, v49, s1, v43
	v_mul_f16_e32 v50, 0xbaee, v46
	v_mul_f16_e32 v46, 0.5, v46
	v_fma_f16 v50, v10, 0.5, v50
	v_fma_f16 v10, v10, s0, v46
	v_add_f16_e32 v46, v19, v15
	v_add_f16_e32 v51, v47, v22
	v_fma_f16 v0, v0, s1, v14
	v_pack_b32_f16 v46, v46, v51
	v_fma_f16 v2, v21, -0.5, v2
	v_fma_f16 v51, v8, s0, v12
	v_fma_f16 v8, v8, s1, v12
	v_fma_f16 v12, v49, s0, v43
	v_mul_f16_e32 v14, 0xbaee, v0
	v_mul_f16_e32 v0, -0.5, v0
	v_fma_f16 v21, v48, s1, v2
	v_fma_f16 v2, v48, s0, v2
	v_fma_f16 v14, v12, -0.5, v14
	v_fma_f16 v0, v12, s0, v0
	v_sub_f16_e32 v12, v19, v15
	v_sub_f16_e32 v15, v47, v22
	v_add_f16_e32 v19, v2, v14
	v_add_f16_e32 v22, v8, v0
	v_pack_b32_f16 v19, v19, v22
	v_pack_b32_f16 v12, v12, v15
	v_add_f16_e32 v65, v51, v10
	s_barrier
	ds_write2_b32 v57, v19, v12 offset0:72 offset1:108
	v_sub_f16_e32 v12, v21, v50
	v_sub_f16_e32 v2, v2, v14
	;; [unrolled: 1-line block ×4, first 2 shown]
	v_pack_b32_f16 v8, v12, v10
	v_pack_b32_f16 v0, v2, v0
	ds_write2_b32 v57, v8, v0 offset0:144 offset1:180
	v_lshrrev_b32_e32 v0, 16, v1
	v_mul_f16_sdwa v2, v58, v0 dst_sel:DWORD dst_unused:UNUSED_PAD src0_sel:WORD_1 src1_sel:DWORD
	v_fma_f16 v2, v58, v1, v2
	v_mul_f16_sdwa v1, v58, v1 dst_sel:DWORD dst_unused:UNUSED_PAD src0_sel:WORD_1 src1_sel:DWORD
	v_fma_f16 v0, v58, v0, -v1
	v_add_f16_e32 v14, v16, v13
	v_add_f16_e32 v14, v14, v0
	v_sub_f16_e32 v15, v13, v0
	v_add_f16_e32 v0, v13, v0
	v_add_f16_e32 v13, v45, v2
	v_lshrrev_b32_e32 v8, 16, v3
	v_fma_f16 v13, v13, -0.5, v11
	v_add_f16_e32 v11, v11, v45
	v_add_f16_e32 v1, v44, v18
	;; [unrolled: 1-line block ×3, first 2 shown]
	v_fma_f16 v0, v0, -0.5, v16
	v_add_f16_e32 v11, v11, v2
	v_sub_f16_e32 v2, v45, v2
	v_fma_f16 v1, v1, -0.5, v3
	v_add_f16_e32 v3, v3, v44
	v_add_f16_e32 v10, v10, v9
	v_sub_f16_e32 v12, v17, v9
	v_add_f16_e32 v9, v17, v9
	v_fma_f16 v17, v2, s0, v0
	v_fma_f16 v8, v9, -0.5, v8
	v_add_f16_e32 v3, v3, v18
	v_sub_f16_e32 v9, v44, v18
	v_fma_f16 v16, v15, s1, v13
	v_mul_f16_e32 v18, 0xbaee, v17
	v_mul_f16_e32 v17, 0.5, v17
	v_fma_f16 v0, v2, s1, v0
	v_add_f16_e32 v64, v21, v50
	v_fma_f16 v18, v16, 0.5, v18
	v_fma_f16 v16, v16, s0, v17
	v_add_f16_e32 v17, v3, v11
	v_add_f16_e32 v19, v10, v14
	v_fma_f16 v21, v9, s0, v8
	v_fma_f16 v8, v9, s1, v8
	;; [unrolled: 1-line block ×3, first 2 shown]
	v_mul_f16_e32 v2, 0xbaee, v0
	v_mul_f16_e32 v0, -0.5, v0
	v_pack_b32_f16 v17, v17, v19
	v_fma_f16 v19, v12, s1, v1
	v_fma_f16 v1, v12, s0, v1
	v_fma_f16 v2, v9, -0.5, v2
	v_fma_f16 v0, v9, s0, v0
	v_sub_f16_e32 v3, v3, v11
	v_sub_f16_e32 v9, v10, v14
	v_add_f16_e32 v10, v1, v2
	v_add_f16_e32 v11, v8, v0
	v_pack_b32_f16 v64, v64, v65
	v_pack_b32_f16 v10, v10, v11
	;; [unrolled: 1-line block ×3, first 2 shown]
	ds_write2_b32 v57, v46, v64 offset1:36
	v_add_f16_e32 v22, v19, v18
	v_add_f16_e32 v43, v21, v16
	ds_write2_b32 v59, v10, v3 offset0:72 offset1:108
	v_sub_f16_e32 v3, v19, v18
	v_sub_f16_e32 v1, v1, v2
	;; [unrolled: 1-line block ×4, first 2 shown]
	v_pack_b32_f16 v22, v22, v43
	v_pack_b32_f16 v2, v3, v2
	;; [unrolled: 1-line block ×3, first 2 shown]
	ds_write2_b32 v59, v17, v22 offset1:36
	ds_write2_b32 v59, v2, v0 offset0:144 offset1:180
	s_waitcnt lgkmcnt(0)
	s_barrier
	ds_read2_b32 v[0:1], v42 offset0:16 offset1:232
	s_waitcnt lgkmcnt(0)
	v_lshrrev_b32_e32 v2, 16, v0
	v_mul_f16_sdwa v3, v4, v0 dst_sel:DWORD dst_unused:UNUSED_PAD src0_sel:WORD_1 src1_sel:DWORD
	v_fma_f16 v8, v4, v2, -v3
	v_mul_f16_sdwa v2, v4, v2 dst_sel:DWORD dst_unused:UNUSED_PAD src0_sel:WORD_1 src1_sel:DWORD
	v_fma_f16 v9, v4, v0, v2
	ds_read2_b32 v[2:3], v41 offset0:32 offset1:248
	v_lshrrev_b32_e32 v0, 16, v1
	v_mul_f16_sdwa v10, v4, v0 dst_sel:DWORD dst_unused:UNUSED_PAD src0_sel:WORD_1 src1_sel:DWORD
	v_fma_f16 v10, v4, v1, v10
	v_mul_f16_sdwa v1, v4, v1 dst_sel:DWORD dst_unused:UNUSED_PAD src0_sel:WORD_1 src1_sel:DWORD
	v_fma_f16 v4, v4, v0, -v1
	s_waitcnt lgkmcnt(0)
	v_lshrrev_b32_e32 v0, 16, v2
	v_mul_f16_sdwa v1, v5, v2 dst_sel:DWORD dst_unused:UNUSED_PAD src0_sel:WORD_1 src1_sel:DWORD
	v_fma_f16 v11, v5, v0, -v1
	v_mul_f16_sdwa v0, v5, v0 dst_sel:DWORD dst_unused:UNUSED_PAD src0_sel:WORD_1 src1_sel:DWORD
	v_fma_f16 v12, v5, v2, v0
	ds_read2_b32 v[0:1], v39 offset0:16 offset1:232
	v_lshrrev_b32_e32 v2, 16, v3
	v_mul_f16_sdwa v13, v5, v2 dst_sel:DWORD dst_unused:UNUSED_PAD src0_sel:WORD_1 src1_sel:DWORD
	v_fma_f16 v13, v5, v3, v13
	v_mul_f16_sdwa v3, v5, v3 dst_sel:DWORD dst_unused:UNUSED_PAD src0_sel:WORD_1 src1_sel:DWORD
	v_fma_f16 v5, v5, v2, -v3
	s_waitcnt lgkmcnt(0)
	v_lshrrev_b32_e32 v2, 16, v0
	v_mul_f16_sdwa v3, v6, v0 dst_sel:DWORD dst_unused:UNUSED_PAD src0_sel:WORD_1 src1_sel:DWORD
	v_fma_f16 v14, v6, v2, -v3
	v_mul_f16_sdwa v2, v6, v2 dst_sel:DWORD dst_unused:UNUSED_PAD src0_sel:WORD_1 src1_sel:DWORD
	v_fma_f16 v15, v6, v0, v2
	ds_read2_b32 v[2:3], v35 offset1:216
	v_lshrrev_b32_e32 v0, 16, v1
	v_mul_f16_sdwa v16, v6, v0 dst_sel:DWORD dst_unused:UNUSED_PAD src0_sel:WORD_1 src1_sel:DWORD
	v_fma_f16 v16, v6, v1, v16
	v_mul_f16_sdwa v1, v6, v1 dst_sel:DWORD dst_unused:UNUSED_PAD src0_sel:WORD_1 src1_sel:DWORD
	v_fma_f16 v6, v6, v0, -v1
	s_waitcnt lgkmcnt(0)
	v_lshrrev_b32_e32 v0, 16, v2
	v_mul_f16_sdwa v1, v7, v2 dst_sel:DWORD dst_unused:UNUSED_PAD src0_sel:WORD_1 src1_sel:DWORD
	v_fma_f16 v17, v7, v0, -v1
	v_mul_f16_sdwa v0, v7, v0 dst_sel:DWORD dst_unused:UNUSED_PAD src0_sel:WORD_1 src1_sel:DWORD
	v_fma_f16 v18, v7, v2, v0
	ds_read2_b32 v[0:1], v34 offset0:16 offset1:232
	v_lshrrev_b32_e32 v2, 16, v3
	v_mul_f16_sdwa v19, v7, v2 dst_sel:DWORD dst_unused:UNUSED_PAD src0_sel:WORD_1 src1_sel:DWORD
	v_fma_f16 v19, v7, v3, v19
	v_mul_f16_sdwa v3, v7, v3 dst_sel:DWORD dst_unused:UNUSED_PAD src0_sel:WORD_1 src1_sel:DWORD
	v_fma_f16 v7, v7, v2, -v3
	s_waitcnt lgkmcnt(0)
	v_lshrrev_b32_e32 v2, 16, v0
	v_mul_f16_sdwa v3, v52, v0 dst_sel:DWORD dst_unused:UNUSED_PAD src0_sel:WORD_1 src1_sel:DWORD
	v_fma_f16 v21, v52, v2, -v3
	v_mul_f16_sdwa v2, v52, v2 dst_sel:DWORD dst_unused:UNUSED_PAD src0_sel:WORD_1 src1_sel:DWORD
	v_fma_f16 v0, v52, v0, v2
	ds_read2_b32 v[2:3], v40 offset1:216
	v_lshrrev_b32_e32 v22, 16, v1
	v_mul_f16_sdwa v43, v52, v22 dst_sel:DWORD dst_unused:UNUSED_PAD src0_sel:WORD_1 src1_sel:DWORD
	v_fma_f16 v43, v52, v1, v43
	v_mul_f16_sdwa v1, v52, v1 dst_sel:DWORD dst_unused:UNUSED_PAD src0_sel:WORD_1 src1_sel:DWORD
	v_fma_f16 v1, v52, v22, -v1
	s_waitcnt lgkmcnt(0)
	v_lshrrev_b32_e32 v22, 16, v2
	v_add_f16_e32 v44, v22, v11
	v_add_f16_e32 v44, v44, v17
	v_sub_f16_e32 v45, v11, v17
	v_add_f16_e32 v11, v11, v17
	v_add_f16_e32 v17, v2, v12
	v_fma_f16 v11, v11, -0.5, v22
	v_add_f16_e32 v17, v17, v18
	v_add_f16_e32 v22, v12, v18
	v_sub_f16_e32 v12, v12, v18
	v_add_f16_e32 v18, v8, v14
	v_sub_f16_e32 v46, v14, v21
	v_add_f16_e32 v14, v14, v21
	v_fma_f16 v8, v14, -0.5, v8
	v_add_f16_e32 v14, v15, v0
	v_fma_f16 v14, v14, -0.5, v9
	v_add_f16_e32 v9, v9, v15
	v_add_f16_e32 v9, v9, v0
	v_sub_f16_e32 v0, v15, v0
	v_add_f16_e32 v18, v18, v21
	v_fma_f16 v21, v0, s0, v8
	v_fma_f16 v15, v46, s1, v14
	v_mul_f16_e32 v47, 0xbaee, v21
	v_mul_f16_e32 v21, 0.5, v21
	v_fma_f16 v47, v15, 0.5, v47
	v_fma_f16 v15, v15, s0, v21
	v_add_f16_e32 v21, v17, v9
	v_add_f16_e32 v48, v44, v18
	v_fma_f16 v0, v0, s1, v8
	v_pack_b32_f16 v21, v21, v48
	v_fma_f16 v2, v22, -0.5, v2
	v_fma_f16 v48, v12, s0, v11
	v_fma_f16 v11, v12, s1, v11
	;; [unrolled: 1-line block ×3, first 2 shown]
	v_mul_f16_e32 v8, 0xbaee, v0
	v_mul_f16_e32 v0, -0.5, v0
	v_fma_f16 v22, v45, s1, v2
	v_fma_f16 v2, v45, s0, v2
	v_fma_f16 v8, v12, -0.5, v8
	v_fma_f16 v0, v12, s0, v0
	v_add_f16_e32 v49, v22, v47
	v_add_f16_e32 v50, v48, v15
	v_sub_f16_e32 v9, v17, v9
	v_sub_f16_e32 v12, v44, v18
	v_add_f16_e32 v14, v2, v8
	v_add_f16_e32 v17, v11, v0
	v_pack_b32_f16 v49, v49, v50
	v_pack_b32_f16 v14, v14, v17
	;; [unrolled: 1-line block ×3, first 2 shown]
	s_barrier
	ds_write2_b32 v40, v21, v49 offset1:216
	ds_write2_b32 v42, v14, v9 offset0:16 offset1:232
	v_sub_f16_e32 v9, v22, v47
	v_sub_f16_e32 v2, v2, v8
	;; [unrolled: 1-line block ×4, first 2 shown]
	v_pack_b32_f16 v8, v9, v8
	v_pack_b32_f16 v0, v2, v0
	v_lshrrev_b32_e32 v2, 16, v3
	ds_write2_b32 v41, v8, v0 offset0:32 offset1:248
	v_add_f16_e32 v8, v2, v5
	v_add_f16_e32 v8, v8, v7
	v_sub_f16_e32 v9, v5, v7
	v_add_f16_e32 v5, v5, v7
	v_add_f16_e32 v7, v4, v6
	;; [unrolled: 1-line block ×3, first 2 shown]
	v_sub_f16_e32 v11, v6, v1
	v_add_f16_e32 v1, v6, v1
	v_fma_f16 v1, v1, -0.5, v4
	v_add_f16_e32 v4, v16, v43
	v_add_f16_e32 v0, v13, v19
	v_fma_f16 v4, v4, -0.5, v10
	v_add_f16_e32 v6, v10, v16
	v_sub_f16_e32 v10, v16, v43
	v_fma_f16 v0, v0, -0.5, v3
	v_add_f16_e32 v3, v3, v13
	v_fma_f16 v2, v5, -0.5, v2
	v_sub_f16_e32 v5, v13, v19
	v_fma_f16 v13, v10, s0, v1
	v_add_f16_e32 v3, v3, v19
	v_add_f16_e32 v6, v6, v43
	v_fma_f16 v12, v11, s1, v4
	v_mul_f16_e32 v14, 0xbaee, v13
	v_mul_f16_e32 v13, 0.5, v13
	v_fma_f16 v1, v10, s1, v1
	v_fma_f16 v14, v12, 0.5, v14
	v_fma_f16 v12, v12, s0, v13
	v_add_f16_e32 v13, v3, v6
	v_add_f16_e32 v15, v8, v7
	v_fma_f16 v16, v5, s0, v2
	v_fma_f16 v2, v5, s1, v2
	;; [unrolled: 1-line block ×3, first 2 shown]
	v_mul_f16_e32 v5, 0xbaee, v1
	v_mul_f16_e32 v1, -0.5, v1
	v_pack_b32_f16 v13, v13, v15
	v_fma_f16 v15, v9, s1, v0
	v_fma_f16 v0, v9, s0, v0
	v_fma_f16 v5, v4, -0.5, v5
	v_fma_f16 v1, v4, s0, v1
	v_sub_f16_e32 v3, v3, v6
	v_add_f16_e32 v6, v0, v5
	v_sub_f16_e32 v0, v0, v5
	v_sub_f16_e32 v5, v8, v7
	v_add_f16_e32 v8, v2, v1
	v_add_f16_e32 v17, v15, v14
	v_add_f16_e32 v18, v16, v12
	v_sub_f16_e32 v4, v15, v14
	v_sub_f16_e32 v7, v16, v12
	;; [unrolled: 1-line block ×3, first 2 shown]
	v_pack_b32_f16 v2, v6, v8
	v_pack_b32_f16 v3, v3, v5
	;; [unrolled: 1-line block ×3, first 2 shown]
	ds_write2_b32 v35, v2, v3 offset1:216
	v_pack_b32_f16 v2, v4, v7
	v_pack_b32_f16 v0, v0, v1
	ds_write2_b32 v39, v13, v17 offset0:16 offset1:232
	ds_write2_b32 v34, v2, v0 offset0:16 offset1:232
	s_waitcnt lgkmcnt(0)
	s_barrier
	ds_read2_b32 v[0:1], v39 offset0:16 offset1:232
	s_waitcnt lgkmcnt(0)
	v_lshrrev_b32_e32 v2, 16, v0
	v_mul_f16_sdwa v3, v61, v2 dst_sel:DWORD dst_unused:UNUSED_PAD src0_sel:WORD_1 src1_sel:DWORD
	v_fma_f16 v5, v61, v0, v3
	v_mul_f16_sdwa v0, v61, v0 dst_sel:DWORD dst_unused:UNUSED_PAD src0_sel:WORD_1 src1_sel:DWORD
	v_fma_f16 v0, v61, v2, -v0
	ds_read2_b32 v[2:3], v40 offset1:216
	v_lshrrev_b32_e32 v4, 16, v1
	v_mul_f16_sdwa v6, v60, v4 dst_sel:DWORD dst_unused:UNUSED_PAD src0_sel:WORD_1 src1_sel:DWORD
	v_fma_f16 v6, v60, v1, v6
	v_mul_f16_sdwa v1, v60, v1 dst_sel:DWORD dst_unused:UNUSED_PAD src0_sel:WORD_1 src1_sel:DWORD
	v_fma_f16 v4, v60, v4, -v1
	s_waitcnt lgkmcnt(0)
	v_lshrrev_b32_e32 v1, 16, v2
	v_sub_f16_e32 v5, v2, v5
	v_sub_f16_e32 v0, v1, v0
	v_fma_f16 v2, v2, 2.0, -v5
	v_fma_f16 v1, v1, 2.0, -v0
	v_pack_b32_f16 v9, v2, v1
	v_pack_b32_f16 v2, v5, v0
	ds_read2_b32 v[0:1], v35 offset1:216
	v_lshrrev_b32_e32 v7, 16, v3
	v_sub_f16_e32 v8, v3, v6
	v_sub_f16_e32 v10, v7, v4
	v_fma_f16 v3, v3, 2.0, -v8
	v_fma_f16 v4, v7, 2.0, -v10
	ds_write_b32 v40, v2 offset:5184
	v_pack_b32_f16 v11, v3, v4
	ds_read2_b32 v[2:3], v42 offset0:16 offset1:232
	ds_read2_b32 v[4:5], v41 offset0:32 offset1:248
	;; [unrolled: 1-line block ×3, first 2 shown]
	ds_write2_b32 v40, v9, v11 offset1:216
	s_waitcnt lgkmcnt(5)
	v_lshrrev_b32_e32 v9, 16, v0
	v_mul_f16_sdwa v11, v56, v0 dst_sel:DWORD dst_unused:UNUSED_PAD src0_sel:WORD_1 src1_sel:DWORD
	v_fma_f16 v11, v56, v9, -v11
	v_mul_f16_sdwa v9, v56, v9 dst_sel:DWORD dst_unused:UNUSED_PAD src0_sel:WORD_1 src1_sel:DWORD
	v_fma_f16 v0, v56, v0, v9
	s_waitcnt lgkmcnt(3)
	v_lshrrev_b32_e32 v9, 16, v2
	v_pack_b32_f16 v8, v8, v10
	v_sub_f16_e32 v0, v2, v0
	v_sub_f16_e32 v10, v9, v11
	v_pack_b32_f16 v11, v0, v10
	ds_write2_b32 v63, v8, v11 offset0:8 offset1:224
	v_lshrrev_b32_e32 v8, 16, v1
	v_mul_f16_sdwa v11, v55, v8 dst_sel:DWORD dst_unused:UNUSED_PAD src0_sel:WORD_1 src1_sel:DWORD
	v_fma_f16 v11, v55, v1, v11
	v_mul_f16_sdwa v1, v55, v1 dst_sel:DWORD dst_unused:UNUSED_PAD src0_sel:WORD_1 src1_sel:DWORD
	v_fma_f16 v1, v55, v8, -v1
	s_waitcnt lgkmcnt(2)
	v_lshrrev_b32_e32 v8, 16, v6
	v_mul_f16_sdwa v12, v54, v6 dst_sel:DWORD dst_unused:UNUSED_PAD src0_sel:WORD_1 src1_sel:DWORD
	v_fma_f16 v12, v54, v8, -v12
	v_mul_f16_sdwa v8, v54, v8 dst_sel:DWORD dst_unused:UNUSED_PAD src0_sel:WORD_1 src1_sel:DWORD
	v_fma_f16 v6, v54, v6, v8
	v_lshrrev_b32_e32 v8, 16, v7
	v_mul_f16_sdwa v13, v53, v8 dst_sel:DWORD dst_unused:UNUSED_PAD src0_sel:WORD_1 src1_sel:DWORD
	v_fma_f16 v13, v53, v7, v13
	v_mul_f16_sdwa v7, v53, v7 dst_sel:DWORD dst_unused:UNUSED_PAD src0_sel:WORD_1 src1_sel:DWORD
	v_fma_f16 v7, v53, v8, -v7
	v_fma_f16 v8, v9, 2.0, -v10
	v_lshrrev_b32_e32 v9, 16, v3
	v_fma_f16 v0, v2, 2.0, -v0
	v_sub_f16_e32 v2, v3, v11
	v_sub_f16_e32 v1, v9, v1
	v_fma_f16 v3, v3, 2.0, -v2
	v_lshrrev_b32_e32 v10, 16, v4
	v_sub_f16_e32 v11, v5, v13
	v_lshrrev_b32_e32 v13, 16, v5
	v_pack_b32_f16 v0, v0, v8
	v_fma_f16 v8, v9, 2.0, -v1
	v_sub_f16_e32 v6, v4, v6
	v_sub_f16_e32 v9, v10, v12
	;; [unrolled: 1-line block ×3, first 2 shown]
	v_pack_b32_f16 v3, v3, v8
	v_fma_f16 v4, v4, 2.0, -v6
	v_fma_f16 v5, v5, 2.0, -v11
	;; [unrolled: 1-line block ×4, first 2 shown]
	ds_write2_b32 v42, v0, v3 offset0:16 offset1:232
	v_pack_b32_f16 v0, v2, v1
	v_pack_b32_f16 v2, v6, v9
	;; [unrolled: 1-line block ×3, first 2 shown]
	ds_write2_b32 v62, v0, v2 offset0:24 offset1:240
	v_pack_b32_f16 v0, v5, v12
	ds_write2_b32 v41, v1, v0 offset0:32 offset1:248
	v_pack_b32_f16 v0, v11, v7
	ds_write_b32 v40, v0 offset:9504
	s_waitcnt lgkmcnt(0)
	s_barrier
	ds_read2_b32 v[0:1], v40 offset1:216
	v_mad_u64_u32 v[4:5], s[0:1], s10, v20, 0
	s_movk_i32 s10, 0x40f
	s_waitcnt lgkmcnt(0)
	v_lshrrev_b32_e32 v7, 16, v0
	v_mul_f16_sdwa v2, v38, v7 dst_sel:DWORD dst_unused:UNUSED_PAD src0_sel:WORD_1 src1_sel:DWORD
	v_fma_f16 v2, v38, v0, v2
	v_cvt_f32_f16_e32 v2, v2
	v_mad_u64_u32 v[5:6], s[0:1], s11, v20, v[5:6]
	v_mul_f16_sdwa v0, v38, v0 dst_sel:DWORD dst_unused:UNUSED_PAD src0_sel:WORD_1 src1_sel:DWORD
	v_cvt_f64_f32_e32 v[2:3], v2
	v_fma_f16 v0, v38, v7, -v0
	v_cvt_f32_f16_e32 v7, v0
	v_mov_b32_e32 v0, 0x7c00
	v_mul_f64 v[2:3], v[2:3], s[2:3]
	s_mov_b32 s11, 0x8000
	v_lshlrev_b64 v[4:5], 2, v[4:5]
	v_and_or_b32 v2, v3, s6, v2
	v_cmp_ne_u32_e32 vcc, 0, v2
	v_cndmask_b32_e64 v2, 0, 1, vcc
	v_lshrrev_b32_e32 v6, 8, v3
	v_bfe_u32 v8, v3, 20, 11
	v_and_or_b32 v2, v6, s7, v2
	v_sub_u32_e32 v9, 0x3f1, v8
	v_or_b32_e32 v6, 0x1000, v2
	v_med3_i32 v9, v9, 0, 13
	v_lshrrev_b32_e32 v10, v9, v6
	v_lshlrev_b32_e32 v9, v9, v10
	v_cmp_ne_u32_e32 vcc, v9, v6
	v_cndmask_b32_e64 v6, 0, 1, vcc
	v_add_u32_e32 v8, 0xfffffc10, v8
	v_or_b32_e32 v6, v10, v6
	v_lshl_or_b32 v9, v8, 12, v2
	v_cmp_gt_i32_e32 vcc, 1, v8
	v_cndmask_b32_e32 v6, v9, v6, vcc
	v_and_b32_e32 v9, 7, v6
	v_cmp_lt_i32_e32 vcc, 5, v9
	v_cmp_eq_u32_e64 s[0:1], 3, v9
	v_lshrrev_b32_e32 v6, 2, v6
	s_or_b64 vcc, s[0:1], vcc
	v_addc_co_u32_e32 v9, vcc, 0, v6, vcc
	v_cvt_f64_f32_e32 v[6:7], v7
	v_cmp_gt_i32_e32 vcc, 31, v8
	v_cndmask_b32_e32 v9, v0, v9, vcc
	v_cmp_ne_u32_e32 vcc, 0, v2
	v_mul_f64 v[6:7], v[6:7], s[2:3]
	v_cndmask_b32_e64 v2, 0, 1, vcc
	v_lshl_or_b32 v2, v2, 9, v0
	v_cmp_eq_u32_e32 vcc, s10, v8
	v_cndmask_b32_e32 v2, v9, v2, vcc
	v_lshrrev_b32_e32 v3, 16, v3
	v_and_or_b32 v10, v3, s11, v2
	v_and_b32_e32 v10, 0xffff, v10
	v_and_or_b32 v2, v7, s6, v6
	v_cmp_ne_u32_e32 vcc, 0, v2
	v_cndmask_b32_e64 v2, 0, 1, vcc
	v_lshrrev_b32_e32 v3, 8, v7
	v_bfe_u32 v6, v7, 20, 11
	v_and_or_b32 v2, v3, s7, v2
	v_sub_u32_e32 v8, 0x3f1, v6
	v_or_b32_e32 v3, 0x1000, v2
	v_med3_i32 v8, v8, 0, 13
	v_lshrrev_b32_e32 v9, v8, v3
	v_lshlrev_b32_e32 v8, v8, v9
	v_cmp_ne_u32_e32 vcc, v8, v3
	v_cndmask_b32_e64 v3, 0, 1, vcc
	v_add_u32_e32 v6, 0xfffffc10, v6
	v_or_b32_e32 v3, v9, v3
	v_lshl_or_b32 v8, v6, 12, v2
	v_cmp_gt_i32_e32 vcc, 1, v6
	v_cndmask_b32_e32 v3, v8, v3, vcc
	v_and_b32_e32 v8, 7, v3
	v_cmp_lt_i32_e32 vcc, 5, v8
	v_cmp_eq_u32_e64 s[0:1], 3, v8
	v_lshrrev_b32_e32 v3, 2, v3
	s_or_b64 vcc, s[0:1], vcc
	v_addc_co_u32_e32 v3, vcc, 0, v3, vcc
	v_cmp_gt_i32_e32 vcc, 31, v6
	v_cndmask_b32_e32 v3, v0, v3, vcc
	v_cmp_ne_u32_e32 vcc, 0, v2
	v_cndmask_b32_e64 v2, 0, 1, vcc
	v_lshl_or_b32 v2, v2, 9, v0
	v_cmp_eq_u32_e32 vcc, s10, v6
	v_mad_u64_u32 v[8:9], s[0:1], s8, v37, 0
	v_cndmask_b32_e32 v11, v3, v2, vcc
	ds_read2_b32 v[2:3], v42 offset0:16 offset1:232
	v_mov_b32_e32 v6, v9
	v_lshrrev_b32_e32 v12, 16, v7
	v_mad_u64_u32 v[6:7], s[0:1], s9, v37, v[6:7]
	s_waitcnt lgkmcnt(0)
	v_lshrrev_b32_e32 v13, 16, v2
	v_mul_f16_sdwa v7, v36, v13 dst_sel:DWORD dst_unused:UNUSED_PAD src0_sel:WORD_1 src1_sel:DWORD
	v_fma_f16 v7, v36, v2, v7
	v_cvt_f32_f16_e32 v7, v7
	v_mov_b32_e32 v9, v6
	v_and_or_b32 v11, v12, s11, v11
	v_lshl_or_b32 v10, v11, 16, v10
	v_cvt_f64_f32_e32 v[6:7], v7
	v_mov_b32_e32 v11, s5
	v_add_co_u32_e32 v12, vcc, s4, v4
	v_mul_f64 v[6:7], v[6:7], s[2:3]
	v_addc_co_u32_e32 v11, vcc, v11, v5, vcc
	v_lshlrev_b64 v[4:5], 2, v[8:9]
	v_mul_f16_sdwa v2, v36, v2 dst_sel:DWORD dst_unused:UNUSED_PAD src0_sel:WORD_1 src1_sel:DWORD
	v_add_co_u32_e32 v8, vcc, v12, v4
	v_addc_co_u32_e32 v9, vcc, v11, v5, vcc
	v_and_or_b32 v4, v7, s6, v6
	v_cmp_ne_u32_e32 vcc, 0, v4
	v_cndmask_b32_e64 v4, 0, 1, vcc
	v_lshrrev_b32_e32 v5, 8, v7
	global_store_dword v[8:9], v10, off
	v_and_or_b32 v10, v5, s7, v4
	v_bfe_u32 v5, v7, 20, 11
	v_sub_u32_e32 v6, 0x3f1, v5
	v_or_b32_e32 v4, 0x1000, v10
	v_med3_i32 v6, v6, 0, 13
	v_lshrrev_b32_e32 v11, v6, v4
	v_lshlrev_b32_e32 v6, v6, v11
	v_cmp_ne_u32_e32 vcc, v6, v4
	v_cndmask_b32_e64 v4, 0, 1, vcc
	v_fma_f16 v2, v36, v13, -v2
	v_or_b32_e32 v4, v11, v4
	v_add_u32_e32 v11, 0xfffffc10, v5
	v_cvt_f32_f16_e32 v2, v2
	v_lshl_or_b32 v5, v11, 12, v10
	v_cmp_gt_i32_e32 vcc, 1, v11
	v_cndmask_b32_e32 v4, v5, v4, vcc
	v_and_b32_e32 v5, 7, v4
	v_cmp_lt_i32_e32 vcc, 5, v5
	v_cmp_eq_u32_e64 s[0:1], 3, v5
	v_lshrrev_b32_e32 v6, 2, v4
	v_cvt_f64_f32_e32 v[4:5], v2
	s_or_b64 vcc, s[0:1], vcc
	v_addc_co_u32_e32 v2, vcc, 0, v6, vcc
	v_mul_f64 v[5:6], v[4:5], s[2:3]
	v_cmp_gt_i32_e32 vcc, 31, v11
	v_cndmask_b32_e32 v2, v0, v2, vcc
	v_cmp_ne_u32_e32 vcc, 0, v10
	v_cndmask_b32_e64 v4, 0, 1, vcc
	v_lshl_or_b32 v4, v4, 9, v0
	v_cmp_eq_u32_e32 vcc, s10, v11
	v_cndmask_b32_e32 v2, v2, v4, vcc
	v_lshrrev_b32_e32 v4, 16, v7
	v_and_or_b32 v2, v4, s11, v2
	v_and_or_b32 v4, v6, s6, v5
	v_cmp_ne_u32_e32 vcc, 0, v4
	v_cndmask_b32_e64 v4, 0, 1, vcc
	v_lshrrev_b32_e32 v5, 8, v6
	v_bfe_u32 v7, v6, 20, 11
	v_and_or_b32 v4, v5, s7, v4
	v_sub_u32_e32 v10, 0x3f1, v7
	v_or_b32_e32 v5, 0x1000, v4
	v_med3_i32 v10, v10, 0, 13
	v_lshrrev_b32_e32 v11, v10, v5
	v_lshlrev_b32_e32 v10, v10, v11
	v_cmp_ne_u32_e32 vcc, v10, v5
	v_cndmask_b32_e64 v5, 0, 1, vcc
	v_add_u32_e32 v7, 0xfffffc10, v7
	v_or_b32_e32 v5, v11, v5
	v_lshl_or_b32 v10, v7, 12, v4
	v_cmp_gt_i32_e32 vcc, 1, v7
	v_cndmask_b32_e32 v5, v10, v5, vcc
	v_and_b32_e32 v10, 7, v5
	v_cmp_lt_i32_e32 vcc, 5, v10
	v_cmp_eq_u32_e64 s[0:1], 3, v10
	v_lshrrev_b32_e32 v5, 2, v5
	s_or_b64 vcc, s[0:1], vcc
	v_addc_co_u32_e32 v5, vcc, 0, v5, vcc
	v_cmp_gt_i32_e32 vcc, 31, v7
	v_cndmask_b32_e32 v10, v0, v5, vcc
	v_cmp_ne_u32_e32 vcc, 0, v4
	ds_read2_b32 v[4:5], v41 offset0:32 offset1:248
	v_cndmask_b32_e64 v11, 0, 1, vcc
	v_lshl_or_b32 v11, v11, 9, v0
	v_cmp_eq_u32_e32 vcc, s10, v7
	v_cndmask_b32_e32 v7, v10, v11, vcc
	s_waitcnt lgkmcnt(0)
	v_lshrrev_b32_e32 v10, 16, v4
	v_mul_f16_sdwa v11, v33, v10 dst_sel:DWORD dst_unused:UNUSED_PAD src0_sel:WORD_1 src1_sel:DWORD
	v_fma_f16 v11, v33, v4, v11
	v_cvt_f32_f16_e32 v11, v11
	v_lshrrev_b32_e32 v6, 16, v6
	v_and_or_b32 v6, v6, s11, v7
	v_and_b32_e32 v2, 0xffff, v2
	v_lshl_or_b32 v2, v6, 16, v2
	v_cvt_f64_f32_e32 v[6:7], v11
	s_mul_i32 s0, s9, 0x6c0
	s_mul_hi_u32 s4, s8, 0x6c0
	s_add_i32 s4, s4, s0
	v_mul_f64 v[6:7], v[6:7], s[2:3]
	s_mul_i32 s5, s8, 0x6c0
	v_mov_b32_e32 v11, s4
	v_add_co_u32_e32 v8, vcc, s5, v8
	v_addc_co_u32_e32 v9, vcc, v9, v11, vcc
	global_store_dword v[8:9], v2, off
	v_and_or_b32 v2, v7, s6, v6
	v_cmp_ne_u32_e32 vcc, 0, v2
	v_cndmask_b32_e64 v2, 0, 1, vcc
	v_lshrrev_b32_e32 v6, 8, v7
	v_bfe_u32 v11, v7, 20, 11
	v_and_or_b32 v2, v6, s7, v2
	v_sub_u32_e32 v12, 0x3f1, v11
	v_or_b32_e32 v6, 0x1000, v2
	v_med3_i32 v12, v12, 0, 13
	v_lshrrev_b32_e32 v13, v12, v6
	v_lshlrev_b32_e32 v12, v12, v13
	v_mul_f16_sdwa v4, v33, v4 dst_sel:DWORD dst_unused:UNUSED_PAD src0_sel:WORD_1 src1_sel:DWORD
	v_cmp_ne_u32_e32 vcc, v12, v6
	v_fma_f16 v4, v33, v10, -v4
	v_cndmask_b32_e64 v6, 0, 1, vcc
	v_add_u32_e32 v12, 0xfffffc10, v11
	v_cvt_f32_f16_e32 v4, v4
	v_or_b32_e32 v6, v13, v6
	v_lshl_or_b32 v11, v12, 12, v2
	v_cmp_gt_i32_e32 vcc, 1, v12
	v_cndmask_b32_e32 v6, v11, v6, vcc
	v_and_b32_e32 v11, 7, v6
	v_cmp_lt_i32_e32 vcc, 5, v11
	v_cmp_eq_u32_e64 s[0:1], 3, v11
	v_cvt_f64_f32_e32 v[10:11], v4
	v_lshrrev_b32_e32 v6, 2, v6
	s_or_b64 vcc, s[0:1], vcc
	v_addc_co_u32_e32 v4, vcc, 0, v6, vcc
	v_mul_f64 v[10:11], v[10:11], s[2:3]
	v_cmp_gt_i32_e32 vcc, 31, v12
	v_cndmask_b32_e32 v4, v0, v4, vcc
	v_cmp_ne_u32_e32 vcc, 0, v2
	v_cndmask_b32_e64 v2, 0, 1, vcc
	v_lshl_or_b32 v2, v2, 9, v0
	v_cmp_eq_u32_e32 vcc, s10, v12
	v_cndmask_b32_e32 v2, v4, v2, vcc
	v_lshrrev_b32_e32 v4, 16, v7
	v_and_or_b32 v2, v4, s11, v2
	v_and_or_b32 v4, v11, s6, v10
	v_cmp_ne_u32_e32 vcc, 0, v4
	v_cndmask_b32_e64 v4, 0, 1, vcc
	v_lshrrev_b32_e32 v6, 8, v11
	v_bfe_u32 v7, v11, 20, 11
	v_and_or_b32 v4, v6, s7, v4
	v_sub_u32_e32 v10, 0x3f1, v7
	v_or_b32_e32 v6, 0x1000, v4
	v_med3_i32 v10, v10, 0, 13
	v_lshrrev_b32_e32 v12, v10, v6
	v_lshlrev_b32_e32 v10, v10, v12
	v_cmp_ne_u32_e32 vcc, v10, v6
	v_cndmask_b32_e64 v6, 0, 1, vcc
	v_add_u32_e32 v10, 0xfffffc10, v7
	v_or_b32_e32 v6, v12, v6
	v_lshl_or_b32 v7, v10, 12, v4
	v_cmp_gt_i32_e32 vcc, 1, v10
	v_cndmask_b32_e32 v6, v7, v6, vcc
	v_and_b32_e32 v7, 7, v6
	v_cmp_lt_i32_e32 vcc, 5, v7
	v_cmp_eq_u32_e64 s[0:1], 3, v7
	v_lshrrev_b32_e32 v6, 2, v6
	s_or_b64 vcc, s[0:1], vcc
	v_addc_co_u32_e32 v12, vcc, 0, v6, vcc
	ds_read2_b32 v[6:7], v39 offset0:16 offset1:232
	v_cmp_gt_i32_e32 vcc, 31, v10
	v_cndmask_b32_e32 v12, v0, v12, vcc
	v_cmp_ne_u32_e32 vcc, 0, v4
	v_cndmask_b32_e64 v4, 0, 1, vcc
	s_waitcnt lgkmcnt(0)
	v_lshrrev_b32_e32 v14, 16, v6
	v_mul_f16_sdwa v13, v32, v14 dst_sel:DWORD dst_unused:UNUSED_PAD src0_sel:WORD_1 src1_sel:DWORD
	v_fma_f16 v13, v32, v6, v13
	v_cvt_f32_f16_e32 v13, v13
	v_lshl_or_b32 v4, v4, 9, v0
	v_cmp_eq_u32_e32 vcc, s10, v10
	v_cndmask_b32_e32 v4, v12, v4, vcc
	v_cvt_f64_f32_e32 v[12:13], v13
	v_lshrrev_b32_e32 v10, 16, v11
	v_and_or_b32 v4, v10, s11, v4
	v_and_b32_e32 v2, 0xffff, v2
	v_mul_f64 v[10:11], v[12:13], s[2:3]
	v_lshl_or_b32 v2, v4, 16, v2
	v_mov_b32_e32 v4, s4
	v_add_co_u32_e32 v12, vcc, s5, v8
	v_addc_co_u32_e32 v13, vcc, v9, v4, vcc
	global_store_dword v[12:13], v2, off
	v_and_or_b32 v2, v11, s6, v10
	v_cmp_ne_u32_e32 vcc, 0, v2
	v_cndmask_b32_e64 v2, 0, 1, vcc
	v_lshrrev_b32_e32 v4, 8, v11
	v_bfe_u32 v8, v11, 20, 11
	v_and_or_b32 v2, v4, s7, v2
	v_sub_u32_e32 v9, 0x3f1, v8
	v_or_b32_e32 v4, 0x1000, v2
	v_med3_i32 v9, v9, 0, 13
	v_lshrrev_b32_e32 v10, v9, v4
	v_lshlrev_b32_e32 v9, v9, v10
	v_mul_f16_sdwa v6, v32, v6 dst_sel:DWORD dst_unused:UNUSED_PAD src0_sel:WORD_1 src1_sel:DWORD
	v_cmp_ne_u32_e32 vcc, v9, v4
	v_fma_f16 v6, v32, v14, -v6
	v_cndmask_b32_e64 v4, 0, 1, vcc
	v_add_u32_e32 v15, 0xfffffc10, v8
	v_cvt_f32_f16_e32 v6, v6
	v_or_b32_e32 v4, v10, v4
	v_lshl_or_b32 v8, v15, 12, v2
	v_cmp_gt_i32_e32 vcc, 1, v15
	v_cndmask_b32_e32 v4, v8, v4, vcc
	v_and_b32_e32 v8, 7, v4
	v_cmp_lt_i32_e32 vcc, 5, v8
	v_cmp_eq_u32_e64 s[0:1], 3, v8
	v_cvt_f64_f32_e32 v[8:9], v6
	v_lshrrev_b32_e32 v4, 2, v4
	s_or_b64 vcc, s[0:1], vcc
	v_addc_co_u32_e32 v4, vcc, 0, v4, vcc
	v_mul_f64 v[9:10], v[8:9], s[2:3]
	v_cmp_gt_i32_e32 vcc, 31, v15
	v_cndmask_b32_e32 v4, v0, v4, vcc
	v_cmp_ne_u32_e32 vcc, 0, v2
	v_cndmask_b32_e64 v2, 0, 1, vcc
	v_lshl_or_b32 v2, v2, 9, v0
	v_cmp_eq_u32_e32 vcc, s10, v15
	v_cndmask_b32_e32 v2, v4, v2, vcc
	v_lshrrev_b32_e32 v4, 16, v11
	v_and_or_b32 v2, v4, s11, v2
	v_and_or_b32 v4, v10, s6, v9
	v_cmp_ne_u32_e32 vcc, 0, v4
	v_cndmask_b32_e64 v4, 0, 1, vcc
	v_lshrrev_b32_e32 v6, 8, v10
	v_bfe_u32 v8, v10, 20, 11
	v_and_or_b32 v4, v6, s7, v4
	v_sub_u32_e32 v9, 0x3f1, v8
	v_or_b32_e32 v6, 0x1000, v4
	v_med3_i32 v9, v9, 0, 13
	v_lshrrev_b32_e32 v11, v9, v6
	v_lshlrev_b32_e32 v9, v9, v11
	v_cmp_ne_u32_e32 vcc, v9, v6
	v_cndmask_b32_e64 v6, 0, 1, vcc
	v_or_b32_e32 v6, v11, v6
	v_add_u32_e32 v11, 0xfffffc10, v8
	v_lshl_or_b32 v8, v11, 12, v4
	v_cmp_gt_i32_e32 vcc, 1, v11
	v_cndmask_b32_e32 v6, v8, v6, vcc
	v_and_b32_e32 v8, 7, v6
	v_cmp_lt_i32_e32 vcc, 5, v8
	v_cmp_eq_u32_e64 s[0:1], 3, v8
	ds_read2_b32 v[8:9], v35 offset1:216
	v_lshrrev_b32_e32 v6, 2, v6
	s_or_b64 vcc, s[0:1], vcc
	v_addc_co_u32_e32 v6, vcc, 0, v6, vcc
	s_waitcnt lgkmcnt(0)
	v_lshrrev_b32_e32 v16, 16, v8
	v_mul_f16_sdwa v14, v31, v16 dst_sel:DWORD dst_unused:UNUSED_PAD src0_sel:WORD_1 src1_sel:DWORD
	v_fma_f16 v14, v31, v8, v14
	v_cvt_f32_f16_e32 v14, v14
	v_cmp_gt_i32_e32 vcc, 31, v11
	v_cndmask_b32_e32 v6, v0, v6, vcc
	v_cmp_ne_u32_e32 vcc, 0, v4
	v_cvt_f64_f32_e32 v[14:15], v14
	v_cndmask_b32_e64 v4, 0, 1, vcc
	v_lshl_or_b32 v4, v4, 9, v0
	v_cmp_eq_u32_e32 vcc, s10, v11
	v_cndmask_b32_e32 v4, v6, v4, vcc
	v_lshrrev_b32_e32 v6, 16, v10
	v_mul_f64 v[10:11], v[14:15], s[2:3]
	v_and_or_b32 v4, v6, s11, v4
	v_and_b32_e32 v2, 0xffff, v2
	v_lshl_or_b32 v2, v4, 16, v2
	v_mov_b32_e32 v4, s4
	v_add_co_u32_e32 v12, vcc, s5, v12
	v_addc_co_u32_e32 v13, vcc, v13, v4, vcc
	global_store_dword v[12:13], v2, off
	v_and_or_b32 v2, v11, s6, v10
	v_cmp_ne_u32_e32 vcc, 0, v2
	v_cndmask_b32_e64 v2, 0, 1, vcc
	v_lshrrev_b32_e32 v4, 8, v11
	v_bfe_u32 v6, v11, 20, 11
	v_and_or_b32 v2, v4, s7, v2
	v_sub_u32_e32 v10, 0x3f1, v6
	v_mul_f16_sdwa v8, v31, v8 dst_sel:DWORD dst_unused:UNUSED_PAD src0_sel:WORD_1 src1_sel:DWORD
	v_or_b32_e32 v4, 0x1000, v2
	v_med3_i32 v10, v10, 0, 13
	v_fma_f16 v8, v31, v16, -v8
	v_lshrrev_b32_e32 v14, v10, v4
	v_cvt_f32_f16_e32 v8, v8
	v_lshlrev_b32_e32 v10, v10, v14
	v_cmp_ne_u32_e32 vcc, v10, v4
	v_cndmask_b32_e64 v4, 0, 1, vcc
	v_or_b32_e32 v4, v14, v4
	v_add_u32_e32 v6, 0xfffffc10, v6
	v_cvt_f64_f32_e32 v[14:15], v8
	v_lshl_or_b32 v10, v6, 12, v2
	v_cmp_gt_i32_e32 vcc, 1, v6
	v_cndmask_b32_e32 v4, v10, v4, vcc
	v_and_b32_e32 v10, 7, v4
	v_cmp_lt_i32_e32 vcc, 5, v10
	v_cmp_eq_u32_e64 s[0:1], 3, v10
	v_mul_f64 v[14:15], v[14:15], s[2:3]
	v_lshrrev_b32_e32 v4, 2, v4
	s_or_b64 vcc, s[0:1], vcc
	v_addc_co_u32_e32 v4, vcc, 0, v4, vcc
	v_cmp_gt_i32_e32 vcc, 31, v6
	v_cndmask_b32_e32 v4, v0, v4, vcc
	v_cmp_ne_u32_e32 vcc, 0, v2
	v_cndmask_b32_e64 v2, 0, 1, vcc
	v_lshl_or_b32 v2, v2, 9, v0
	v_cmp_eq_u32_e32 vcc, s10, v6
	v_cndmask_b32_e32 v2, v4, v2, vcc
	v_lshrrev_b32_e32 v4, 16, v11
	v_and_or_b32 v2, v4, s11, v2
	v_and_or_b32 v4, v15, s6, v14
	v_cmp_ne_u32_e32 vcc, 0, v4
	v_cndmask_b32_e64 v4, 0, 1, vcc
	v_lshrrev_b32_e32 v6, 8, v15
	v_bfe_u32 v8, v15, 20, 11
	v_and_or_b32 v4, v6, s7, v4
	v_sub_u32_e32 v10, 0x3f1, v8
	v_or_b32_e32 v6, 0x1000, v4
	v_med3_i32 v10, v10, 0, 13
	v_lshrrev_b32_e32 v11, v10, v6
	v_lshlrev_b32_e32 v10, v10, v11
	v_cmp_ne_u32_e32 vcc, v10, v6
	v_cndmask_b32_e64 v6, 0, 1, vcc
	v_add_u32_e32 v8, 0xfffffc10, v8
	v_or_b32_e32 v6, v11, v6
	v_lshl_or_b32 v10, v8, 12, v4
	v_cmp_gt_i32_e32 vcc, 1, v8
	v_cndmask_b32_e32 v6, v10, v6, vcc
	v_and_b32_e32 v10, 7, v6
	v_cmp_lt_i32_e32 vcc, 5, v10
	v_cmp_eq_u32_e64 s[0:1], 3, v10
	ds_read2_b32 v[10:11], v34 offset0:16 offset1:232
	v_lshrrev_b32_e32 v6, 2, v6
	s_or_b64 vcc, s[0:1], vcc
	v_addc_co_u32_e32 v6, vcc, 0, v6, vcc
	s_waitcnt lgkmcnt(0)
	v_lshrrev_b32_e32 v18, 16, v10
	v_mul_f16_sdwa v14, v30, v18 dst_sel:DWORD dst_unused:UNUSED_PAD src0_sel:WORD_1 src1_sel:DWORD
	v_fma_f16 v14, v30, v10, v14
	v_cvt_f32_f16_e32 v14, v14
	v_cmp_gt_i32_e32 vcc, 31, v8
	v_cndmask_b32_e32 v6, v0, v6, vcc
	v_cmp_ne_u32_e32 vcc, 0, v4
	v_cvt_f64_f32_e32 v[16:17], v14
	v_cndmask_b32_e64 v4, 0, 1, vcc
	v_lshl_or_b32 v4, v4, 9, v0
	v_cmp_eq_u32_e32 vcc, s10, v8
	v_cndmask_b32_e32 v4, v6, v4, vcc
	v_lshrrev_b32_e32 v6, 16, v15
	v_mul_f64 v[14:15], v[16:17], s[2:3]
	v_and_or_b32 v4, v6, s11, v4
	v_and_b32_e32 v2, 0xffff, v2
	v_lshl_or_b32 v2, v4, 16, v2
	v_mov_b32_e32 v4, s4
	v_add_co_u32_e32 v12, vcc, s5, v12
	v_addc_co_u32_e32 v13, vcc, v13, v4, vcc
	global_store_dword v[12:13], v2, off
	v_and_or_b32 v2, v15, s6, v14
	v_cmp_ne_u32_e32 vcc, 0, v2
	v_cndmask_b32_e64 v2, 0, 1, vcc
	v_lshrrev_b32_e32 v4, 8, v15
	v_bfe_u32 v6, v15, 20, 11
	v_mul_f16_sdwa v10, v30, v10 dst_sel:DWORD dst_unused:UNUSED_PAD src0_sel:WORD_1 src1_sel:DWORD
	v_and_or_b32 v2, v4, s7, v2
	v_sub_u32_e32 v8, 0x3f1, v6
	v_fma_f16 v10, v30, v18, -v10
	v_or_b32_e32 v4, 0x1000, v2
	v_med3_i32 v8, v8, 0, 13
	v_cvt_f32_f16_e32 v10, v10
	v_lshrrev_b32_e32 v14, v8, v4
	v_lshlrev_b32_e32 v8, v8, v14
	v_cmp_ne_u32_e32 vcc, v8, v4
	v_cndmask_b32_e64 v4, 0, 1, vcc
	v_add_u32_e32 v6, 0xfffffc10, v6
	v_cvt_f64_f32_e32 v[16:17], v10
	v_or_b32_e32 v4, v14, v4
	v_lshl_or_b32 v8, v6, 12, v2
	v_cmp_gt_i32_e32 vcc, 1, v6
	v_cndmask_b32_e32 v4, v8, v4, vcc
	v_and_b32_e32 v8, 7, v4
	v_cmp_lt_i32_e32 vcc, 5, v8
	v_cmp_eq_u32_e64 s[0:1], 3, v8
	v_mul_f64 v[16:17], v[16:17], s[2:3]
	v_lshrrev_b32_e32 v4, 2, v4
	s_or_b64 vcc, s[0:1], vcc
	v_addc_co_u32_e32 v4, vcc, 0, v4, vcc
	v_cmp_gt_i32_e32 vcc, 31, v6
	v_cndmask_b32_e32 v4, v0, v4, vcc
	v_cmp_ne_u32_e32 vcc, 0, v2
	v_cndmask_b32_e64 v2, 0, 1, vcc
	v_lshl_or_b32 v2, v2, 9, v0
	v_cmp_eq_u32_e32 vcc, s10, v6
	v_cndmask_b32_e32 v2, v4, v2, vcc
	v_lshrrev_b32_e32 v4, 16, v15
	v_and_or_b32 v2, v4, s11, v2
	v_and_or_b32 v4, v17, s6, v16
	v_cmp_ne_u32_e32 vcc, 0, v4
	v_cndmask_b32_e64 v4, 0, 1, vcc
	v_lshrrev_b32_e32 v6, 8, v17
	v_bfe_u32 v8, v17, 20, 11
	v_and_or_b32 v4, v6, s7, v4
	v_sub_u32_e32 v10, 0x3f1, v8
	v_or_b32_e32 v6, 0x1000, v4
	v_med3_i32 v10, v10, 0, 13
	v_lshrrev_b32_e32 v14, v10, v6
	v_lshlrev_b32_e32 v10, v10, v14
	v_cmp_ne_u32_e32 vcc, v10, v6
	v_cndmask_b32_e64 v6, 0, 1, vcc
	v_add_u32_e32 v8, 0xfffffc10, v8
	v_or_b32_e32 v6, v14, v6
	v_lshl_or_b32 v10, v8, 12, v4
	v_cmp_gt_i32_e32 vcc, 1, v8
	v_cndmask_b32_e32 v6, v10, v6, vcc
	v_and_b32_e32 v10, 7, v6
	v_cmp_lt_i32_e32 vcc, 5, v10
	v_cmp_eq_u32_e64 s[0:1], 3, v10
	v_lshrrev_b32_e32 v10, 16, v1
	v_mul_f16_sdwa v14, v29, v10 dst_sel:DWORD dst_unused:UNUSED_PAD src0_sel:WORD_1 src1_sel:DWORD
	v_fma_f16 v14, v29, v1, v14
	v_cvt_f32_f16_e32 v14, v14
	v_lshrrev_b32_e32 v6, 2, v6
	s_or_b64 vcc, s[0:1], vcc
	v_addc_co_u32_e32 v6, vcc, 0, v6, vcc
	v_cvt_f64_f32_e32 v[14:15], v14
	v_cmp_gt_i32_e32 vcc, 31, v8
	v_cndmask_b32_e32 v6, v0, v6, vcc
	v_cmp_ne_u32_e32 vcc, 0, v4
	v_mul_f64 v[14:15], v[14:15], s[2:3]
	v_cndmask_b32_e64 v4, 0, 1, vcc
	v_lshl_or_b32 v4, v4, 9, v0
	v_cmp_eq_u32_e32 vcc, s10, v8
	v_cndmask_b32_e32 v4, v6, v4, vcc
	v_lshrrev_b32_e32 v6, 16, v17
	v_and_or_b32 v4, v6, s11, v4
	v_and_b32_e32 v2, 0xffff, v2
	v_lshl_or_b32 v2, v4, 16, v2
	v_mov_b32_e32 v4, s4
	v_add_co_u32_e32 v12, vcc, s5, v12
	v_addc_co_u32_e32 v13, vcc, v13, v4, vcc
	global_store_dword v[12:13], v2, off
	v_and_or_b32 v2, v15, s6, v14
	v_cmp_ne_u32_e32 vcc, 0, v2
	v_cndmask_b32_e64 v2, 0, 1, vcc
	v_lshrrev_b32_e32 v4, 8, v15
	v_bfe_u32 v6, v15, 20, 11
	v_and_or_b32 v4, v4, s7, v2
	v_sub_u32_e32 v8, 0x3f1, v6
	v_or_b32_e32 v2, 0x1000, v4
	v_med3_i32 v8, v8, 0, 13
	v_lshrrev_b32_e32 v14, v8, v2
	v_lshlrev_b32_e32 v8, v8, v14
	v_mul_f16_sdwa v1, v29, v1 dst_sel:DWORD dst_unused:UNUSED_PAD src0_sel:WORD_1 src1_sel:DWORD
	v_cmp_ne_u32_e32 vcc, v8, v2
	v_fma_f16 v1, v29, v10, -v1
	v_cndmask_b32_e64 v2, 0, 1, vcc
	v_add_u32_e32 v6, 0xfffffc10, v6
	v_cvt_f32_f16_e32 v1, v1
	v_or_b32_e32 v2, v14, v2
	v_lshl_or_b32 v8, v6, 12, v4
	v_cmp_gt_i32_e32 vcc, 1, v6
	v_cndmask_b32_e32 v2, v8, v2, vcc
	v_and_b32_e32 v8, 7, v2
	v_cmp_lt_i32_e32 vcc, 5, v8
	v_cmp_eq_u32_e64 s[0:1], 3, v8
	v_lshrrev_b32_e32 v8, 2, v2
	v_cvt_f64_f32_e32 v[1:2], v1
	s_or_b64 vcc, s[0:1], vcc
	v_addc_co_u32_e32 v8, vcc, 0, v8, vcc
	v_mul_f64 v[1:2], v[1:2], s[2:3]
	v_cmp_gt_i32_e32 vcc, 31, v6
	v_cndmask_b32_e32 v8, v0, v8, vcc
	v_cmp_ne_u32_e32 vcc, 0, v4
	v_cndmask_b32_e64 v4, 0, 1, vcc
	v_lshl_or_b32 v4, v4, 9, v0
	v_cmp_eq_u32_e32 vcc, s10, v6
	v_cndmask_b32_e32 v4, v8, v4, vcc
	v_and_or_b32 v1, v2, s6, v1
	v_lshrrev_b32_e32 v6, 16, v15
	v_cmp_ne_u32_e32 vcc, 0, v1
	v_and_or_b32 v4, v6, s11, v4
	v_cndmask_b32_e64 v1, 0, 1, vcc
	v_lshrrev_b32_e32 v6, 8, v2
	v_bfe_u32 v8, v2, 20, 11
	v_and_or_b32 v1, v6, s7, v1
	v_sub_u32_e32 v10, 0x3f1, v8
	v_or_b32_e32 v6, 0x1000, v1
	v_med3_i32 v10, v10, 0, 13
	v_lshrrev_b32_e32 v14, v10, v6
	v_lshlrev_b32_e32 v10, v10, v14
	v_cmp_ne_u32_e32 vcc, v10, v6
	v_cndmask_b32_e64 v6, 0, 1, vcc
	v_add_u32_e32 v8, 0xfffffc10, v8
	v_or_b32_e32 v6, v14, v6
	v_lshl_or_b32 v10, v8, 12, v1
	v_cmp_gt_i32_e32 vcc, 1, v8
	v_cndmask_b32_e32 v6, v10, v6, vcc
	v_and_b32_e32 v10, 7, v6
	v_cmp_lt_i32_e32 vcc, 5, v10
	v_cmp_eq_u32_e64 s[0:1], 3, v10
	v_lshrrev_b32_e32 v10, 16, v3
	v_mul_f16_sdwa v14, v27, v10 dst_sel:DWORD dst_unused:UNUSED_PAD src0_sel:WORD_1 src1_sel:DWORD
	v_fma_f16 v14, v27, v3, v14
	v_cvt_f32_f16_e32 v14, v14
	v_lshrrev_b32_e32 v6, 2, v6
	s_or_b64 vcc, s[0:1], vcc
	v_addc_co_u32_e32 v6, vcc, 0, v6, vcc
	v_cmp_gt_i32_e32 vcc, 31, v8
	v_cndmask_b32_e32 v6, v0, v6, vcc
	v_cmp_ne_u32_e32 vcc, 0, v1
	v_cvt_f64_f32_e32 v[14:15], v14
	v_cndmask_b32_e64 v1, 0, 1, vcc
	v_lshl_or_b32 v1, v1, 9, v0
	v_cmp_eq_u32_e32 vcc, s10, v8
	v_cndmask_b32_e32 v1, v6, v1, vcc
	v_lshrrev_b32_e32 v2, 16, v2
	v_and_or_b32 v6, v2, s11, v1
	v_mul_f64 v[1:2], v[14:15], s[2:3]
	v_mad_u64_u32 v[12:13], s[0:1], s8, v28, v[12:13]
	s_mul_i32 s0, s9, 0xffffe1a0
	v_and_b32_e32 v4, 0xffff, v4
	s_sub_i32 s0, s0, s8
	v_lshl_or_b32 v4, v6, 16, v4
	v_add_u32_e32 v13, s0, v13
	v_and_or_b32 v1, v2, s6, v1
	v_cmp_ne_u32_e32 vcc, 0, v1
	global_store_dword v[12:13], v4, off
	v_cndmask_b32_e64 v1, 0, 1, vcc
	v_lshrrev_b32_e32 v4, 8, v2
	v_bfe_u32 v6, v2, 20, 11
	v_and_or_b32 v1, v4, s7, v1
	v_sub_u32_e32 v8, 0x3f1, v6
	v_or_b32_e32 v4, 0x1000, v1
	v_med3_i32 v8, v8, 0, 13
	v_lshrrev_b32_e32 v14, v8, v4
	v_lshlrev_b32_e32 v8, v8, v14
	v_mul_f16_sdwa v3, v27, v3 dst_sel:DWORD dst_unused:UNUSED_PAD src0_sel:WORD_1 src1_sel:DWORD
	v_cmp_ne_u32_e32 vcc, v8, v4
	v_fma_f16 v3, v27, v10, -v3
	v_cndmask_b32_e64 v4, 0, 1, vcc
	v_add_u32_e32 v6, 0xfffffc10, v6
	v_cvt_f32_f16_e32 v3, v3
	v_or_b32_e32 v4, v14, v4
	v_lshl_or_b32 v8, v6, 12, v1
	v_cmp_gt_i32_e32 vcc, 1, v6
	v_cndmask_b32_e32 v4, v8, v4, vcc
	v_and_b32_e32 v8, 7, v4
	v_cmp_lt_i32_e32 vcc, 5, v8
	v_cmp_eq_u32_e64 s[0:1], 3, v8
	v_lshrrev_b32_e32 v8, 2, v4
	v_cvt_f64_f32_e32 v[3:4], v3
	s_or_b64 vcc, s[0:1], vcc
	v_addc_co_u32_e32 v8, vcc, 0, v8, vcc
	v_mul_f64 v[3:4], v[3:4], s[2:3]
	v_cmp_gt_i32_e32 vcc, 31, v6
	v_cndmask_b32_e32 v8, v0, v8, vcc
	v_cmp_ne_u32_e32 vcc, 0, v1
	v_cndmask_b32_e64 v1, 0, 1, vcc
	v_lshl_or_b32 v1, v1, 9, v0
	v_cmp_eq_u32_e32 vcc, s10, v6
	v_cndmask_b32_e32 v1, v8, v1, vcc
	v_lshrrev_b32_e32 v2, 16, v2
	v_and_or_b32 v6, v2, s11, v1
	v_and_or_b32 v1, v4, s6, v3
	v_cmp_ne_u32_e32 vcc, 0, v1
	v_cndmask_b32_e64 v1, 0, 1, vcc
	v_lshrrev_b32_e32 v2, 8, v4
	v_bfe_u32 v3, v4, 20, 11
	v_and_or_b32 v1, v2, s7, v1
	v_sub_u32_e32 v8, 0x3f1, v3
	v_or_b32_e32 v2, 0x1000, v1
	v_med3_i32 v8, v8, 0, 13
	v_lshrrev_b32_e32 v10, v8, v2
	v_lshlrev_b32_e32 v8, v8, v10
	v_cmp_ne_u32_e32 vcc, v8, v2
	v_cndmask_b32_e64 v2, 0, 1, vcc
	v_add_u32_e32 v3, 0xfffffc10, v3
	v_or_b32_e32 v2, v10, v2
	v_lshl_or_b32 v8, v3, 12, v1
	v_cmp_gt_i32_e32 vcc, 1, v3
	v_cndmask_b32_e32 v2, v8, v2, vcc
	v_and_b32_e32 v8, 7, v2
	v_cmp_lt_i32_e32 vcc, 5, v8
	v_cmp_eq_u32_e64 s[0:1], 3, v8
	v_lshrrev_b32_e32 v8, 16, v5
	v_lshrrev_b32_e32 v2, 2, v2
	s_or_b64 vcc, s[0:1], vcc
	v_mul_f16_sdwa v10, v26, v8 dst_sel:DWORD dst_unused:UNUSED_PAD src0_sel:WORD_1 src1_sel:DWORD
	v_addc_co_u32_e32 v2, vcc, 0, v2, vcc
	v_fma_f16 v10, v26, v5, v10
	v_cmp_gt_i32_e32 vcc, 31, v3
	v_cvt_f32_f16_e32 v10, v10
	v_cndmask_b32_e32 v2, v0, v2, vcc
	v_cmp_ne_u32_e32 vcc, 0, v1
	v_cndmask_b32_e64 v1, 0, 1, vcc
	v_lshl_or_b32 v1, v1, 9, v0
	v_cmp_eq_u32_e32 vcc, s10, v3
	v_cndmask_b32_e32 v3, v2, v1, vcc
	v_cvt_f64_f32_e32 v[1:2], v10
	v_lshrrev_b32_e32 v4, 16, v4
	v_and_or_b32 v3, v4, s11, v3
	v_and_b32_e32 v4, 0xffff, v6
	v_mul_f64 v[1:2], v[1:2], s[2:3]
	v_lshl_or_b32 v6, v3, 16, v4
	v_mov_b32_e32 v4, s4
	v_add_co_u32_e32 v3, vcc, s5, v12
	v_addc_co_u32_e32 v4, vcc, v13, v4, vcc
	global_store_dword v[3:4], v6, off
	v_and_or_b32 v1, v2, s6, v1
	v_cmp_ne_u32_e32 vcc, 0, v1
	v_cndmask_b32_e64 v1, 0, 1, vcc
	v_lshrrev_b32_e32 v6, 8, v2
	v_bfe_u32 v10, v2, 20, 11
	v_and_or_b32 v1, v6, s7, v1
	v_sub_u32_e32 v12, 0x3f1, v10
	v_or_b32_e32 v6, 0x1000, v1
	v_med3_i32 v12, v12, 0, 13
	v_lshrrev_b32_e32 v13, v12, v6
	v_mul_f16_sdwa v5, v26, v5 dst_sel:DWORD dst_unused:UNUSED_PAD src0_sel:WORD_1 src1_sel:DWORD
	v_lshlrev_b32_e32 v12, v12, v13
	v_fma_f16 v5, v26, v8, -v5
	v_cmp_ne_u32_e32 vcc, v12, v6
	v_cvt_f32_f16_e32 v5, v5
	v_cndmask_b32_e64 v6, 0, 1, vcc
	v_add_u32_e32 v10, 0xfffffc10, v10
	v_or_b32_e32 v6, v13, v6
	v_lshl_or_b32 v12, v10, 12, v1
	v_cmp_gt_i32_e32 vcc, 1, v10
	v_cndmask_b32_e32 v6, v12, v6, vcc
	v_and_b32_e32 v12, 7, v6
	v_lshrrev_b32_e32 v8, 2, v6
	v_cvt_f64_f32_e32 v[5:6], v5
	v_cmp_lt_i32_e32 vcc, 5, v12
	v_cmp_eq_u32_e64 s[0:1], 3, v12
	s_or_b64 vcc, s[0:1], vcc
	v_mul_f64 v[5:6], v[5:6], s[2:3]
	v_addc_co_u32_e32 v8, vcc, 0, v8, vcc
	v_cmp_gt_i32_e32 vcc, 31, v10
	v_cndmask_b32_e32 v8, v0, v8, vcc
	v_cmp_ne_u32_e32 vcc, 0, v1
	v_cndmask_b32_e64 v1, 0, 1, vcc
	v_lshl_or_b32 v1, v1, 9, v0
	v_cmp_eq_u32_e32 vcc, s10, v10
	v_cndmask_b32_e32 v1, v8, v1, vcc
	v_lshrrev_b32_e32 v2, 16, v2
	v_and_or_b32 v8, v2, s11, v1
	v_and_or_b32 v1, v6, s6, v5
	v_cmp_ne_u32_e32 vcc, 0, v1
	v_cndmask_b32_e64 v1, 0, 1, vcc
	v_lshrrev_b32_e32 v2, 8, v6
	v_bfe_u32 v5, v6, 20, 11
	v_and_or_b32 v1, v2, s7, v1
	v_sub_u32_e32 v10, 0x3f1, v5
	v_or_b32_e32 v2, 0x1000, v1
	v_med3_i32 v10, v10, 0, 13
	v_lshrrev_b32_e32 v12, v10, v2
	v_lshlrev_b32_e32 v10, v10, v12
	v_cmp_ne_u32_e32 vcc, v10, v2
	v_cndmask_b32_e64 v2, 0, 1, vcc
	v_add_u32_e32 v5, 0xfffffc10, v5
	v_or_b32_e32 v2, v12, v2
	v_lshl_or_b32 v10, v5, 12, v1
	v_cmp_gt_i32_e32 vcc, 1, v5
	v_cndmask_b32_e32 v2, v10, v2, vcc
	v_and_b32_e32 v10, 7, v2
	v_cmp_lt_i32_e32 vcc, 5, v10
	v_cmp_eq_u32_e64 s[0:1], 3, v10
	v_lshrrev_b32_e32 v10, 16, v7
	v_lshrrev_b32_e32 v2, 2, v2
	s_or_b64 vcc, s[0:1], vcc
	v_mul_f16_sdwa v12, v25, v10 dst_sel:DWORD dst_unused:UNUSED_PAD src0_sel:WORD_1 src1_sel:DWORD
	v_addc_co_u32_e32 v2, vcc, 0, v2, vcc
	v_fma_f16 v12, v25, v7, v12
	v_cmp_gt_i32_e32 vcc, 31, v5
	v_cvt_f32_f16_e32 v12, v12
	v_cndmask_b32_e32 v2, v0, v2, vcc
	v_cmp_ne_u32_e32 vcc, 0, v1
	v_cndmask_b32_e64 v1, 0, 1, vcc
	v_lshl_or_b32 v1, v1, 9, v0
	v_cmp_eq_u32_e32 vcc, s10, v5
	v_cndmask_b32_e32 v5, v2, v1, vcc
	v_cvt_f64_f32_e32 v[1:2], v12
	v_lshrrev_b32_e32 v6, 16, v6
	v_and_or_b32 v5, v6, s11, v5
	v_and_b32_e32 v6, 0xffff, v8
	v_mul_f64 v[1:2], v[1:2], s[2:3]
	v_lshl_or_b32 v5, v5, 16, v6
	v_mov_b32_e32 v6, s4
	v_add_co_u32_e32 v3, vcc, s5, v3
	v_addc_co_u32_e32 v4, vcc, v4, v6, vcc
	global_store_dword v[3:4], v5, off
	v_and_or_b32 v1, v2, s6, v1
	v_cmp_ne_u32_e32 vcc, 0, v1
	v_cndmask_b32_e64 v1, 0, 1, vcc
	v_lshrrev_b32_e32 v5, 8, v2
	v_bfe_u32 v6, v2, 20, 11
	v_and_or_b32 v1, v5, s7, v1
	v_sub_u32_e32 v8, 0x3f1, v6
	v_or_b32_e32 v5, 0x1000, v1
	v_med3_i32 v8, v8, 0, 13
	v_lshrrev_b32_e32 v12, v8, v5
	v_lshlrev_b32_e32 v8, v8, v12
	v_mul_f16_sdwa v7, v25, v7 dst_sel:DWORD dst_unused:UNUSED_PAD src0_sel:WORD_1 src1_sel:DWORD
	v_cmp_ne_u32_e32 vcc, v8, v5
	v_fma_f16 v7, v25, v10, -v7
	v_cndmask_b32_e64 v5, 0, 1, vcc
	v_add_u32_e32 v8, 0xfffffc10, v6
	v_cvt_f32_f16_e32 v7, v7
	v_or_b32_e32 v5, v12, v5
	v_lshl_or_b32 v6, v8, 12, v1
	v_cmp_gt_i32_e32 vcc, 1, v8
	v_cndmask_b32_e32 v5, v6, v5, vcc
	v_and_b32_e32 v6, 7, v5
	v_cmp_lt_i32_e32 vcc, 5, v6
	v_cmp_eq_u32_e64 s[0:1], 3, v6
	v_lshrrev_b32_e32 v10, 2, v5
	v_cvt_f64_f32_e32 v[5:6], v7
	s_or_b64 vcc, s[0:1], vcc
	v_addc_co_u32_e32 v7, vcc, 0, v10, vcc
	v_mul_f64 v[5:6], v[5:6], s[2:3]
	v_cmp_gt_i32_e32 vcc, 31, v8
	v_cndmask_b32_e32 v7, v0, v7, vcc
	v_cmp_ne_u32_e32 vcc, 0, v1
	v_cndmask_b32_e64 v1, 0, 1, vcc
	v_lshl_or_b32 v1, v1, 9, v0
	v_cmp_eq_u32_e32 vcc, s10, v8
	v_cndmask_b32_e32 v1, v7, v1, vcc
	v_lshrrev_b32_e32 v2, 16, v2
	v_and_or_b32 v7, v2, s11, v1
	v_and_or_b32 v1, v6, s6, v5
	v_cmp_ne_u32_e32 vcc, 0, v1
	v_cndmask_b32_e64 v1, 0, 1, vcc
	v_lshrrev_b32_e32 v2, 8, v6
	v_bfe_u32 v5, v6, 20, 11
	v_and_or_b32 v1, v2, s7, v1
	v_sub_u32_e32 v8, 0x3f1, v5
	v_or_b32_e32 v2, 0x1000, v1
	v_med3_i32 v8, v8, 0, 13
	v_lshrrev_b32_e32 v10, v8, v2
	v_lshlrev_b32_e32 v8, v8, v10
	v_cmp_ne_u32_e32 vcc, v8, v2
	v_cndmask_b32_e64 v2, 0, 1, vcc
	v_add_u32_e32 v5, 0xfffffc10, v5
	v_or_b32_e32 v2, v10, v2
	v_lshl_or_b32 v8, v5, 12, v1
	v_cmp_gt_i32_e32 vcc, 1, v5
	v_cndmask_b32_e32 v2, v8, v2, vcc
	v_and_b32_e32 v8, 7, v2
	v_cmp_lt_i32_e32 vcc, 5, v8
	v_cmp_eq_u32_e64 s[0:1], 3, v8
	v_lshrrev_b32_e32 v8, 16, v9
	v_lshrrev_b32_e32 v2, 2, v2
	s_or_b64 vcc, s[0:1], vcc
	v_mul_f16_sdwa v10, v24, v8 dst_sel:DWORD dst_unused:UNUSED_PAD src0_sel:WORD_1 src1_sel:DWORD
	v_addc_co_u32_e32 v2, vcc, 0, v2, vcc
	v_fma_f16 v10, v24, v9, v10
	v_cmp_gt_i32_e32 vcc, 31, v5
	v_cvt_f32_f16_e32 v10, v10
	v_cndmask_b32_e32 v2, v0, v2, vcc
	v_cmp_ne_u32_e32 vcc, 0, v1
	v_cndmask_b32_e64 v1, 0, 1, vcc
	v_lshl_or_b32 v1, v1, 9, v0
	v_cmp_eq_u32_e32 vcc, s10, v5
	v_cndmask_b32_e32 v5, v2, v1, vcc
	v_cvt_f64_f32_e32 v[1:2], v10
	v_lshrrev_b32_e32 v6, 16, v6
	v_and_or_b32 v5, v6, s11, v5
	v_and_b32_e32 v6, 0xffff, v7
	v_mul_f64 v[1:2], v[1:2], s[2:3]
	v_lshl_or_b32 v5, v5, 16, v6
	v_mov_b32_e32 v6, s4
	v_add_co_u32_e32 v3, vcc, s5, v3
	v_addc_co_u32_e32 v4, vcc, v4, v6, vcc
	global_store_dword v[3:4], v5, off
	v_and_or_b32 v1, v2, s6, v1
	v_cmp_ne_u32_e32 vcc, 0, v1
	v_cndmask_b32_e64 v1, 0, 1, vcc
	v_lshrrev_b32_e32 v5, 8, v2
	v_bfe_u32 v6, v2, 20, 11
	v_and_or_b32 v1, v5, s7, v1
	v_sub_u32_e32 v7, 0x3f1, v6
	v_or_b32_e32 v5, 0x1000, v1
	v_med3_i32 v7, v7, 0, 13
	v_lshrrev_b32_e32 v10, v7, v5
	v_lshlrev_b32_e32 v7, v7, v10
	v_mul_f16_sdwa v9, v24, v9 dst_sel:DWORD dst_unused:UNUSED_PAD src0_sel:WORD_1 src1_sel:DWORD
	v_cmp_ne_u32_e32 vcc, v7, v5
	v_fma_f16 v8, v24, v8, -v9
	v_cndmask_b32_e64 v5, 0, 1, vcc
	v_add_u32_e32 v7, 0xfffffc10, v6
	v_cvt_f32_f16_e32 v8, v8
	v_or_b32_e32 v5, v10, v5
	v_lshl_or_b32 v6, v7, 12, v1
	v_cmp_gt_i32_e32 vcc, 1, v7
	v_cndmask_b32_e32 v5, v6, v5, vcc
	v_and_b32_e32 v6, 7, v5
	v_cmp_lt_i32_e32 vcc, 5, v6
	v_cmp_eq_u32_e64 s[0:1], 3, v6
	v_lshrrev_b32_e32 v9, 2, v5
	v_cvt_f64_f32_e32 v[5:6], v8
	s_or_b64 vcc, s[0:1], vcc
	v_addc_co_u32_e32 v8, vcc, 0, v9, vcc
	v_mul_f64 v[5:6], v[5:6], s[2:3]
	v_cmp_gt_i32_e32 vcc, 31, v7
	v_cndmask_b32_e32 v8, v0, v8, vcc
	v_cmp_ne_u32_e32 vcc, 0, v1
	v_cndmask_b32_e64 v1, 0, 1, vcc
	v_lshl_or_b32 v1, v1, 9, v0
	v_cmp_eq_u32_e32 vcc, s10, v7
	v_cndmask_b32_e32 v1, v8, v1, vcc
	v_lshrrev_b32_e32 v2, 16, v2
	v_and_or_b32 v7, v2, s11, v1
	v_and_or_b32 v1, v6, s6, v5
	v_cmp_ne_u32_e32 vcc, 0, v1
	v_cndmask_b32_e64 v1, 0, 1, vcc
	v_lshrrev_b32_e32 v2, 8, v6
	v_bfe_u32 v5, v6, 20, 11
	v_and_or_b32 v1, v2, s7, v1
	v_sub_u32_e32 v8, 0x3f1, v5
	v_or_b32_e32 v2, 0x1000, v1
	v_med3_i32 v8, v8, 0, 13
	v_lshrrev_b32_e32 v9, v8, v2
	v_lshlrev_b32_e32 v8, v8, v9
	v_cmp_ne_u32_e32 vcc, v8, v2
	v_cndmask_b32_e64 v2, 0, 1, vcc
	v_add_u32_e32 v5, 0xfffffc10, v5
	v_or_b32_e32 v2, v9, v2
	v_lshl_or_b32 v8, v5, 12, v1
	v_cmp_gt_i32_e32 vcc, 1, v5
	v_cndmask_b32_e32 v2, v8, v2, vcc
	v_and_b32_e32 v8, 7, v2
	v_cmp_lt_i32_e32 vcc, 5, v8
	v_cmp_eq_u32_e64 s[0:1], 3, v8
	v_lshrrev_b32_e32 v8, 16, v11
	v_lshrrev_b32_e32 v2, 2, v2
	s_or_b64 vcc, s[0:1], vcc
	v_mul_f16_sdwa v9, v23, v8 dst_sel:DWORD dst_unused:UNUSED_PAD src0_sel:WORD_1 src1_sel:DWORD
	v_addc_co_u32_e32 v2, vcc, 0, v2, vcc
	v_fma_f16 v9, v23, v11, v9
	v_cmp_gt_i32_e32 vcc, 31, v5
	v_cvt_f32_f16_e32 v9, v9
	v_cndmask_b32_e32 v2, v0, v2, vcc
	v_cmp_ne_u32_e32 vcc, 0, v1
	v_cndmask_b32_e64 v1, 0, 1, vcc
	v_lshl_or_b32 v1, v1, 9, v0
	v_cmp_eq_u32_e32 vcc, s10, v5
	v_cndmask_b32_e32 v5, v2, v1, vcc
	v_cvt_f64_f32_e32 v[1:2], v9
	v_lshrrev_b32_e32 v6, 16, v6
	v_and_or_b32 v5, v6, s11, v5
	v_and_b32_e32 v6, 0xffff, v7
	v_mul_f64 v[1:2], v[1:2], s[2:3]
	v_lshl_or_b32 v5, v5, 16, v6
	v_mov_b32_e32 v6, s4
	v_add_co_u32_e32 v3, vcc, s5, v3
	v_addc_co_u32_e32 v4, vcc, v4, v6, vcc
	global_store_dword v[3:4], v5, off
	v_and_or_b32 v1, v2, s6, v1
	v_cmp_ne_u32_e32 vcc, 0, v1
	v_cndmask_b32_e64 v1, 0, 1, vcc
	v_lshrrev_b32_e32 v5, 8, v2
	v_bfe_u32 v6, v2, 20, 11
	v_and_or_b32 v1, v5, s7, v1
	v_sub_u32_e32 v7, 0x3f1, v6
	v_or_b32_e32 v5, 0x1000, v1
	v_med3_i32 v7, v7, 0, 13
	v_lshrrev_b32_e32 v9, v7, v5
	v_lshlrev_b32_e32 v7, v7, v9
	v_cmp_ne_u32_e32 vcc, v7, v5
	v_cndmask_b32_e64 v5, 0, 1, vcc
	v_or_b32_e32 v5, v9, v5
	v_mul_f16_sdwa v9, v23, v11 dst_sel:DWORD dst_unused:UNUSED_PAD src0_sel:WORD_1 src1_sel:DWORD
	v_fma_f16 v8, v23, v8, -v9
	v_add_u32_e32 v7, 0xfffffc10, v6
	v_cvt_f32_f16_e32 v8, v8
	v_lshl_or_b32 v6, v7, 12, v1
	v_cmp_gt_i32_e32 vcc, 1, v7
	v_cndmask_b32_e32 v5, v6, v5, vcc
	v_and_b32_e32 v6, 7, v5
	v_cmp_lt_i32_e32 vcc, 5, v6
	v_cmp_eq_u32_e64 s[0:1], 3, v6
	v_lshrrev_b32_e32 v9, 2, v5
	v_cvt_f64_f32_e32 v[5:6], v8
	s_or_b64 vcc, s[0:1], vcc
	v_addc_co_u32_e32 v8, vcc, 0, v9, vcc
	v_mul_f64 v[5:6], v[5:6], s[2:3]
	v_cmp_gt_i32_e32 vcc, 31, v7
	v_cndmask_b32_e32 v8, v0, v8, vcc
	v_cmp_ne_u32_e32 vcc, 0, v1
	v_cndmask_b32_e64 v1, 0, 1, vcc
	v_lshl_or_b32 v1, v1, 9, v0
	v_cmp_eq_u32_e32 vcc, s10, v7
	v_cndmask_b32_e32 v1, v8, v1, vcc
	v_lshrrev_b32_e32 v2, 16, v2
	v_and_or_b32 v1, v2, s11, v1
	v_and_or_b32 v2, v6, s6, v5
	v_cmp_ne_u32_e32 vcc, 0, v2
	v_cndmask_b32_e64 v2, 0, 1, vcc
	v_lshrrev_b32_e32 v5, 8, v6
	v_bfe_u32 v7, v6, 20, 11
	v_and_or_b32 v2, v5, s7, v2
	v_sub_u32_e32 v8, 0x3f1, v7
	v_or_b32_e32 v5, 0x1000, v2
	v_med3_i32 v8, v8, 0, 13
	v_lshrrev_b32_e32 v9, v8, v5
	v_lshlrev_b32_e32 v8, v8, v9
	v_cmp_ne_u32_e32 vcc, v8, v5
	v_cndmask_b32_e64 v5, 0, 1, vcc
	v_add_u32_e32 v7, 0xfffffc10, v7
	v_or_b32_e32 v5, v9, v5
	v_lshl_or_b32 v8, v7, 12, v2
	v_cmp_gt_i32_e32 vcc, 1, v7
	v_cndmask_b32_e32 v5, v8, v5, vcc
	v_and_b32_e32 v8, 7, v5
	v_cmp_lt_i32_e32 vcc, 5, v8
	v_cmp_eq_u32_e64 s[0:1], 3, v8
	v_lshrrev_b32_e32 v5, 2, v5
	s_or_b64 vcc, s[0:1], vcc
	v_addc_co_u32_e32 v5, vcc, 0, v5, vcc
	v_cmp_gt_i32_e32 vcc, 31, v7
	v_cndmask_b32_e32 v5, v0, v5, vcc
	v_cmp_ne_u32_e32 vcc, 0, v2
	v_cndmask_b32_e64 v2, 0, 1, vcc
	v_lshl_or_b32 v0, v2, 9, v0
	v_cmp_eq_u32_e32 vcc, s10, v7
	v_cndmask_b32_e32 v0, v5, v0, vcc
	v_lshrrev_b32_e32 v2, 16, v6
	v_and_or_b32 v0, v2, s11, v0
	v_and_b32_e32 v1, 0xffff, v1
	v_lshl_or_b32 v2, v0, 16, v1
	v_mov_b32_e32 v1, s4
	v_add_co_u32_e32 v0, vcc, s5, v3
	v_addc_co_u32_e32 v1, vcc, v4, v1, vcc
	global_store_dword v[0:1], v2, off
.LBB0_2:
	s_endpgm
	.section	.rodata,"a",@progbits
	.p2align	6, 0x0
	.amdhsa_kernel bluestein_single_back_len2592_dim1_half_op_CI_CI
		.amdhsa_group_segment_fixed_size 10368
		.amdhsa_private_segment_fixed_size 0
		.amdhsa_kernarg_size 104
		.amdhsa_user_sgpr_count 6
		.amdhsa_user_sgpr_private_segment_buffer 1
		.amdhsa_user_sgpr_dispatch_ptr 0
		.amdhsa_user_sgpr_queue_ptr 0
		.amdhsa_user_sgpr_kernarg_segment_ptr 1
		.amdhsa_user_sgpr_dispatch_id 0
		.amdhsa_user_sgpr_flat_scratch_init 0
		.amdhsa_user_sgpr_private_segment_size 0
		.amdhsa_uses_dynamic_stack 0
		.amdhsa_system_sgpr_private_segment_wavefront_offset 0
		.amdhsa_system_sgpr_workgroup_id_x 1
		.amdhsa_system_sgpr_workgroup_id_y 0
		.amdhsa_system_sgpr_workgroup_id_z 0
		.amdhsa_system_sgpr_workgroup_info 0
		.amdhsa_system_vgpr_workitem_id 0
		.amdhsa_next_free_vgpr 83
		.amdhsa_next_free_sgpr 20
		.amdhsa_reserve_vcc 1
		.amdhsa_reserve_flat_scratch 0
		.amdhsa_float_round_mode_32 0
		.amdhsa_float_round_mode_16_64 0
		.amdhsa_float_denorm_mode_32 3
		.amdhsa_float_denorm_mode_16_64 3
		.amdhsa_dx10_clamp 1
		.amdhsa_ieee_mode 1
		.amdhsa_fp16_overflow 0
		.amdhsa_exception_fp_ieee_invalid_op 0
		.amdhsa_exception_fp_denorm_src 0
		.amdhsa_exception_fp_ieee_div_zero 0
		.amdhsa_exception_fp_ieee_overflow 0
		.amdhsa_exception_fp_ieee_underflow 0
		.amdhsa_exception_fp_ieee_inexact 0
		.amdhsa_exception_int_div_zero 0
	.end_amdhsa_kernel
	.text
.Lfunc_end0:
	.size	bluestein_single_back_len2592_dim1_half_op_CI_CI, .Lfunc_end0-bluestein_single_back_len2592_dim1_half_op_CI_CI
                                        ; -- End function
	.section	.AMDGPU.csdata,"",@progbits
; Kernel info:
; codeLenInByte = 17976
; NumSgprs: 24
; NumVgprs: 83
; ScratchSize: 0
; MemoryBound: 0
; FloatMode: 240
; IeeeMode: 1
; LDSByteSize: 10368 bytes/workgroup (compile time only)
; SGPRBlocks: 2
; VGPRBlocks: 20
; NumSGPRsForWavesPerEU: 24
; NumVGPRsForWavesPerEU: 83
; Occupancy: 3
; WaveLimiterHint : 1
; COMPUTE_PGM_RSRC2:SCRATCH_EN: 0
; COMPUTE_PGM_RSRC2:USER_SGPR: 6
; COMPUTE_PGM_RSRC2:TRAP_HANDLER: 0
; COMPUTE_PGM_RSRC2:TGID_X_EN: 1
; COMPUTE_PGM_RSRC2:TGID_Y_EN: 0
; COMPUTE_PGM_RSRC2:TGID_Z_EN: 0
; COMPUTE_PGM_RSRC2:TIDIG_COMP_CNT: 0
	.type	__hip_cuid_8be2a5bb320d8c00,@object ; @__hip_cuid_8be2a5bb320d8c00
	.section	.bss,"aw",@nobits
	.globl	__hip_cuid_8be2a5bb320d8c00
__hip_cuid_8be2a5bb320d8c00:
	.byte	0                               ; 0x0
	.size	__hip_cuid_8be2a5bb320d8c00, 1

	.ident	"AMD clang version 19.0.0git (https://github.com/RadeonOpenCompute/llvm-project roc-6.4.0 25133 c7fe45cf4b819c5991fe208aaa96edf142730f1d)"
	.section	".note.GNU-stack","",@progbits
	.addrsig
	.addrsig_sym __hip_cuid_8be2a5bb320d8c00
	.amdgpu_metadata
---
amdhsa.kernels:
  - .args:
      - .actual_access:  read_only
        .address_space:  global
        .offset:         0
        .size:           8
        .value_kind:     global_buffer
      - .actual_access:  read_only
        .address_space:  global
        .offset:         8
        .size:           8
        .value_kind:     global_buffer
      - .actual_access:  read_only
        .address_space:  global
        .offset:         16
        .size:           8
        .value_kind:     global_buffer
      - .actual_access:  read_only
        .address_space:  global
        .offset:         24
        .size:           8
        .value_kind:     global_buffer
      - .actual_access:  read_only
        .address_space:  global
        .offset:         32
        .size:           8
        .value_kind:     global_buffer
      - .offset:         40
        .size:           8
        .value_kind:     by_value
      - .address_space:  global
        .offset:         48
        .size:           8
        .value_kind:     global_buffer
      - .address_space:  global
        .offset:         56
        .size:           8
        .value_kind:     global_buffer
      - .address_space:  global
        .offset:         64
        .size:           8
        .value_kind:     global_buffer
      - .address_space:  global
        .offset:         72
        .size:           8
        .value_kind:     global_buffer
      - .offset:         80
        .size:           4
        .value_kind:     by_value
      - .address_space:  global
        .offset:         88
        .size:           8
        .value_kind:     global_buffer
      - .address_space:  global
        .offset:         96
        .size:           8
        .value_kind:     global_buffer
    .group_segment_fixed_size: 10368
    .kernarg_segment_align: 8
    .kernarg_segment_size: 104
    .language:       OpenCL C
    .language_version:
      - 2
      - 0
    .max_flat_workgroup_size: 216
    .name:           bluestein_single_back_len2592_dim1_half_op_CI_CI
    .private_segment_fixed_size: 0
    .sgpr_count:     24
    .sgpr_spill_count: 0
    .symbol:         bluestein_single_back_len2592_dim1_half_op_CI_CI.kd
    .uniform_work_group_size: 1
    .uses_dynamic_stack: false
    .vgpr_count:     83
    .vgpr_spill_count: 0
    .wavefront_size: 64
amdhsa.target:   amdgcn-amd-amdhsa--gfx906
amdhsa.version:
  - 1
  - 2
...

	.end_amdgpu_metadata
